;; amdgpu-corpus repo=ROCm/rocFFT kind=compiled arch=gfx906 opt=O3
	.text
	.amdgcn_target "amdgcn-amd-amdhsa--gfx906"
	.amdhsa_code_object_version 6
	.protected	bluestein_single_back_len1155_dim1_sp_op_CI_CI ; -- Begin function bluestein_single_back_len1155_dim1_sp_op_CI_CI
	.globl	bluestein_single_back_len1155_dim1_sp_op_CI_CI
	.p2align	8
	.type	bluestein_single_back_len1155_dim1_sp_op_CI_CI,@function
bluestein_single_back_len1155_dim1_sp_op_CI_CI: ; @bluestein_single_back_len1155_dim1_sp_op_CI_CI
; %bb.0:
	s_load_dwordx4 s[12:15], s[4:5], 0x28
	v_mul_u32_u24_e32 v1, 0x4a8, v0
	v_add_u32_sdwa v158, s6, v1 dst_sel:DWORD dst_unused:UNUSED_PAD src0_sel:DWORD src1_sel:WORD_1
	v_mov_b32_e32 v159, 0
	s_waitcnt lgkmcnt(0)
	v_cmp_gt_u64_e32 vcc, s[12:13], v[158:159]
	s_and_saveexec_b64 s[0:1], vcc
	s_cbranch_execz .LBB0_23
; %bb.1:
	s_load_dwordx4 s[0:3], s[4:5], 0x18
	s_load_dwordx2 s[16:17], s[4:5], 0x0
	v_mov_b32_e32 v2, 55
	v_mul_lo_u16_sdwa v1, v1, v2 dst_sel:DWORD dst_unused:UNUSED_PAD src0_sel:WORD_1 src1_sel:DWORD
	v_sub_u16_e32 v172, v0, v1
	s_waitcnt lgkmcnt(0)
	s_load_dwordx4 s[8:11], s[0:1], 0x0
	v_lshlrev_b32_e32 v171, 3, v172
	v_add_co_u32_e64 v142, s[6:7], s16, v171
	s_waitcnt lgkmcnt(0)
	v_mad_u64_u32 v[0:1], s[0:1], s10, v158, 0
	v_mad_u64_u32 v[2:3], s[0:1], s8, v172, 0
	;; [unrolled: 1-line block ×4, first 2 shown]
	v_mov_b32_e32 v1, v4
	v_lshlrev_b64 v[0:1], 3, v[0:1]
	v_mov_b32_e32 v6, s15
	v_mov_b32_e32 v3, v5
	v_add_co_u32_e32 v4, vcc, s14, v0
	v_addc_co_u32_e32 v5, vcc, v6, v1, vcc
	v_lshlrev_b64 v[0:1], 3, v[2:3]
	s_mul_i32 s0, s9, 0x69
	s_mul_hi_u32 s1, s8, 0x69
	v_add_co_u32_e32 v0, vcc, v4, v0
	v_mov_b32_e32 v2, s17
	s_add_i32 s1, s1, s0
	s_mul_i32 s0, s8, 0x69
	v_addc_co_u32_e32 v1, vcc, v5, v1, vcc
	v_addc_co_u32_e64 v143, vcc, 0, v2, s[6:7]
	s_lshl_b64 s[18:19], s[0:1], 3
	v_mov_b32_e32 v26, s19
	v_add_co_u32_e32 v2, vcc, s18, v0
	v_addc_co_u32_e32 v3, vcc, v1, v26, vcc
	v_add_co_u32_e32 v4, vcc, s18, v2
	v_addc_co_u32_e32 v5, vcc, v3, v26, vcc
	;; [unrolled: 2-line block ×3, first 2 shown]
	global_load_dwordx2 v[8:9], v[0:1], off
	global_load_dwordx2 v[10:11], v[2:3], off
	;; [unrolled: 1-line block ×4, first 2 shown]
	global_load_dwordx2 v[165:166], v171, s[16:17]
	global_load_dwordx2 v[163:164], v171, s[16:17] offset:840
	global_load_dwordx2 v[161:162], v171, s[16:17] offset:1680
	;; [unrolled: 1-line block ×3, first 2 shown]
	v_add_co_u32_e32 v0, vcc, s18, v6
	v_addc_co_u32_e32 v1, vcc, v7, v26, vcc
	v_add_co_u32_e32 v2, vcc, s18, v0
	v_addc_co_u32_e32 v3, vcc, v1, v26, vcc
	s_movk_i32 s0, 0x1000
	global_load_dwordx2 v[5:6], v[0:1], off
	global_load_dwordx2 v[154:155], v171, s[16:17] offset:3360
	v_add_co_u32_e32 v0, vcc, s0, v142
	v_addc_co_u32_e32 v1, vcc, 0, v143, vcc
	global_load_dwordx2 v[16:17], v[2:3], off
	v_add_co_u32_e32 v2, vcc, s18, v2
	v_addc_co_u32_e32 v3, vcc, v3, v26, vcc
	global_load_dwordx2 v[18:19], v[2:3], off
	;; [unrolled: 3-line block ×3, first 2 shown]
	v_add_co_u32_e32 v2, vcc, s18, v2
	global_load_dwordx2 v[152:153], v[0:1], off offset:104
	v_addc_co_u32_e32 v3, vcc, v3, v26, vcc
	global_load_dwordx2 v[22:23], v[2:3], off
	global_load_dwordx2 v[159:160], v[0:1], off offset:944
	global_load_dwordx2 v[150:151], v[0:1], off offset:1784
	;; [unrolled: 1-line block ×3, first 2 shown]
	v_add_co_u32_e32 v2, vcc, s18, v2
	v_addc_co_u32_e32 v3, vcc, v3, v26, vcc
	global_load_dwordx2 v[24:25], v[2:3], off
	global_load_dwordx2 v[146:147], v[0:1], off offset:3464
	v_add_co_u32_e32 v2, vcc, s18, v2
	v_addc_co_u32_e32 v3, vcc, v3, v26, vcc
	s_movk_i32 s0, 0x2000
	v_add_co_u32_e32 v28, vcc, s0, v142
	v_addc_co_u32_e32 v29, vcc, 0, v143, vcc
	global_load_dwordx2 v[26:27], v[2:3], off
	global_load_dwordx2 v[144:145], v[28:29], off offset:208
	s_load_dwordx2 s[10:11], s[4:5], 0x38
	s_load_dwordx4 s[12:15], s[2:3], 0x0
	v_cmp_gt_u16_e64 s[0:1], 50, v172
	s_waitcnt vmcnt(17)
	v_mul_f32_e32 v7, v9, v166
	v_mul_f32_e32 v4, v8, v166
	v_fmac_f32_e32 v7, v8, v165
	v_fma_f32 v8, v9, v165, -v4
	s_waitcnt vmcnt(16)
	v_mul_f32_e32 v9, v11, v164
	v_mul_f32_e32 v4, v10, v164
	v_fmac_f32_e32 v9, v10, v163
	v_fma_f32 v10, v11, v163, -v4
	s_waitcnt vmcnt(15)
	v_mul_f32_e32 v4, v12, v162
	ds_write2_b64 v171, v[7:8], v[9:10] offset1:105
	v_mul_f32_e32 v7, v13, v162
	v_fma_f32 v8, v13, v161, -v4
	s_waitcnt vmcnt(14)
	v_mul_f32_e32 v9, v15, v157
	v_mul_f32_e32 v4, v14, v157
	v_fmac_f32_e32 v7, v12, v161
	v_fmac_f32_e32 v9, v14, v156
	v_fma_f32 v10, v15, v156, -v4
	v_add_u32_e32 v4, 0x400, v171
	ds_write2_b64 v4, v[7:8], v[9:10] offset0:82 offset1:187
	s_waitcnt vmcnt(12)
	v_mul_f32_e32 v7, v6, v155
	v_fmac_f32_e32 v7, v5, v154
	v_mul_f32_e32 v5, v5, v155
	v_fma_f32 v8, v6, v154, -v5
	s_waitcnt vmcnt(8)
	v_mul_f32_e32 v9, v17, v153
	v_mul_f32_e32 v5, v16, v153
	v_fmac_f32_e32 v9, v16, v152
	v_fma_f32 v10, v17, v152, -v5
	v_add_u32_e32 v5, 0xc00, v171
	s_waitcnt vmcnt(6)
	v_mul_f32_e32 v6, v18, v160
	ds_write2_b64 v5, v[7:8], v[9:10] offset0:36 offset1:141
	v_mul_f32_e32 v7, v19, v160
	v_fma_f32 v8, v19, v159, -v6
	s_waitcnt vmcnt(5)
	v_mul_f32_e32 v9, v21, v151
	v_mul_f32_e32 v6, v20, v151
	v_fmac_f32_e32 v7, v18, v159
	v_fmac_f32_e32 v9, v20, v150
	v_fma_f32 v10, v21, v150, -v6
	v_add_u32_e32 v6, 0x1000, v171
	ds_write2_b64 v6, v[7:8], v[9:10] offset0:118 offset1:223
	s_waitcnt vmcnt(4)
	v_mul_f32_e32 v7, v22, v149
	v_mul_f32_e32 v8, v23, v149
	v_fma_f32 v9, v23, v148, -v7
	s_waitcnt vmcnt(2)
	v_mul_f32_e32 v10, v25, v147
	v_mul_f32_e32 v7, v24, v147
	v_fmac_f32_e32 v8, v22, v148
	v_fmac_f32_e32 v10, v24, v146
	v_fma_f32 v11, v25, v146, -v7
	v_add_u32_e32 v7, 0x1800, v171
	ds_write2_b64 v7, v[8:9], v[10:11] offset0:72 offset1:177
	s_waitcnt vmcnt(0)
	v_mul_f32_e32 v8, v27, v145
	v_mul_f32_e32 v9, v26, v145
	v_fmac_f32_e32 v8, v26, v144
	v_fma_f32 v9, v27, v144, -v9
	ds_write_b64 v171, v[8:9] offset:8400
	s_and_saveexec_b64 s[2:3], s[0:1]
	s_cbranch_execz .LBB0_3
; %bb.2:
	v_mov_b32_e32 v8, 0xffffe0e8
	v_mad_u64_u32 v[2:3], s[20:21], s8, v8, v[2:3]
	s_mulk_i32 s9, 0xe0e8
	s_sub_i32 s8, s9, s8
	v_add_u32_e32 v3, s8, v3
	global_load_dwordx2 v[8:9], v[2:3], off
	v_mov_b32_e32 v48, s19
	v_add_co_u32_e32 v2, vcc, s18, v2
	v_addc_co_u32_e32 v3, vcc, v3, v48, vcc
	global_load_dwordx2 v[10:11], v[2:3], off
	v_add_co_u32_e32 v2, vcc, s18, v2
	v_addc_co_u32_e32 v3, vcc, v3, v48, vcc
	global_load_dwordx2 v[12:13], v[2:3], off
	v_add_co_u32_e32 v2, vcc, s18, v2
	v_addc_co_u32_e32 v3, vcc, v3, v48, vcc
	global_load_dwordx2 v[14:15], v[2:3], off
	global_load_dwordx2 v[16:17], v[142:143], off offset:440
	global_load_dwordx2 v[18:19], v[142:143], off offset:1280
	;; [unrolled: 1-line block ×4, first 2 shown]
	v_add_co_u32_e32 v2, vcc, s18, v2
	v_addc_co_u32_e32 v3, vcc, v3, v48, vcc
	global_load_dwordx2 v[24:25], v[2:3], off
	global_load_dwordx2 v[26:27], v[142:143], off offset:3800
	v_add_co_u32_e32 v2, vcc, s18, v2
	v_addc_co_u32_e32 v3, vcc, v3, v48, vcc
	global_load_dwordx2 v[28:29], v[2:3], off
	v_add_co_u32_e32 v2, vcc, s18, v2
	v_addc_co_u32_e32 v3, vcc, v3, v48, vcc
	global_load_dwordx2 v[30:31], v[2:3], off
	;; [unrolled: 3-line block ×3, first 2 shown]
	global_load_dwordx2 v[34:35], v[0:1], off offset:544
	global_load_dwordx2 v[36:37], v[0:1], off offset:1384
	;; [unrolled: 1-line block ×3, first 2 shown]
	v_add_co_u32_e32 v2, vcc, s18, v2
	v_addc_co_u32_e32 v3, vcc, v3, v48, vcc
	global_load_dwordx2 v[40:41], v[2:3], off
	v_add_co_u32_e32 v2, vcc, s18, v2
	v_addc_co_u32_e32 v3, vcc, v3, v48, vcc
	global_load_dwordx2 v[42:43], v[2:3], off
	global_load_dwordx2 v[44:45], v[0:1], off offset:3064
	global_load_dwordx2 v[46:47], v[0:1], off offset:3904
	v_add_co_u32_e32 v0, vcc, s18, v2
	v_addc_co_u32_e32 v1, vcc, v3, v48, vcc
	v_add_co_u32_e32 v2, vcc, 0x2000, v142
	v_addc_co_u32_e32 v3, vcc, 0, v143, vcc
	global_load_dwordx2 v[48:49], v[2:3], off offset:648
	global_load_dwordx2 v[50:51], v[0:1], off
	s_waitcnt vmcnt(17)
	v_mul_f32_e32 v0, v9, v17
	v_mul_f32_e32 v1, v8, v17
	s_waitcnt vmcnt(16)
	v_mul_f32_e32 v2, v11, v19
	v_mul_f32_e32 v3, v10, v19
	v_fmac_f32_e32 v0, v8, v16
	v_fma_f32 v1, v9, v16, -v1
	v_fmac_f32_e32 v2, v10, v18
	v_fma_f32 v3, v11, v18, -v3
	s_waitcnt vmcnt(15)
	v_mul_f32_e32 v8, v13, v21
	v_mul_f32_e32 v9, v12, v21
	ds_write2_b64 v171, v[0:1], v[2:3] offset0:55 offset1:160
	s_waitcnt vmcnt(14)
	v_mul_f32_e32 v0, v15, v23
	v_mul_f32_e32 v1, v14, v23
	v_fmac_f32_e32 v8, v12, v20
	v_fma_f32 v9, v13, v20, -v9
	v_fmac_f32_e32 v0, v14, v22
	v_fma_f32 v1, v15, v22, -v1
	v_add_u32_e32 v2, 0x800, v171
	ds_write2_b64 v2, v[8:9], v[0:1] offset0:9 offset1:114
	s_waitcnt vmcnt(12)
	v_mul_f32_e32 v0, v25, v27
	v_mul_f32_e32 v1, v24, v27
	s_waitcnt vmcnt(8)
	v_mul_f32_e32 v2, v29, v35
	v_mul_f32_e32 v3, v28, v35
	v_fmac_f32_e32 v0, v24, v26
	v_fma_f32 v1, v25, v26, -v1
	v_fmac_f32_e32 v2, v28, v34
	v_fma_f32 v3, v29, v34, -v3
	ds_write2_b64 v5, v[0:1], v[2:3] offset0:91 offset1:196
	s_waitcnt vmcnt(7)
	v_mul_f32_e32 v0, v31, v37
	v_mul_f32_e32 v1, v30, v37
	s_waitcnt vmcnt(6)
	v_mul_f32_e32 v2, v33, v39
	v_mul_f32_e32 v3, v32, v39
	v_fmac_f32_e32 v0, v30, v36
	v_fma_f32 v1, v31, v36, -v1
	v_fmac_f32_e32 v2, v32, v38
	v_fma_f32 v3, v33, v38, -v3
	v_add_u32_e32 v8, 0x1400, v171
	ds_write2_b64 v8, v[0:1], v[2:3] offset0:45 offset1:150
	s_waitcnt vmcnt(3)
	v_mul_f32_e32 v0, v41, v45
	v_mul_f32_e32 v1, v40, v45
	s_waitcnt vmcnt(2)
	v_mul_f32_e32 v2, v43, v47
	v_mul_f32_e32 v3, v42, v47
	v_fmac_f32_e32 v0, v40, v44
	v_fma_f32 v1, v41, v44, -v1
	v_fmac_f32_e32 v2, v42, v46
	v_fma_f32 v3, v43, v46, -v3
	ds_write2_b64 v7, v[0:1], v[2:3] offset0:127 offset1:232
	s_waitcnt vmcnt(0)
	v_mul_f32_e32 v0, v51, v49
	v_mul_f32_e32 v1, v50, v49
	v_fmac_f32_e32 v0, v50, v48
	v_fma_f32 v1, v51, v48, -v1
	ds_write_b64 v171, v[0:1] offset:8840
.LBB0_3:
	s_or_b64 exec, exec, s[2:3]
	s_waitcnt lgkmcnt(0)
	; wave barrier
	s_waitcnt lgkmcnt(0)
	ds_read2_b64 v[36:39], v171 offset1:105
	ds_read2_b64 v[28:31], v4 offset0:82 offset1:187
	ds_read2_b64 v[20:23], v5 offset0:36 offset1:141
	;; [unrolled: 1-line block ×4, first 2 shown]
	ds_read_b64 v[42:43], v171 offset:8400
	v_mov_b32_e32 v0, 0
	v_mov_b32_e32 v1, 0
                                        ; implicit-def: $vgpr4
                                        ; implicit-def: $vgpr16
                                        ; implicit-def: $vgpr40
                                        ; implicit-def: $vgpr14
                                        ; implicit-def: $vgpr10
	s_and_saveexec_b64 s[2:3], s[0:1]
	s_cbranch_execz .LBB0_5
; %bb.4:
	v_add_u32_e32 v4, 0x800, v171
	ds_read2_b64 v[8:11], v4 offset0:9 offset1:114
	v_add_u32_e32 v4, 0xc00, v171
	ds_read2_b64 v[12:15], v4 offset0:91 offset1:196
	v_add_u32_e32 v4, 0x1400, v171
	v_add_u32_e32 v16, 0x1800, v171
	ds_read2_b64 v[0:3], v171 offset0:55 offset1:160
	ds_read2_b64 v[4:7], v4 offset0:45 offset1:150
	;; [unrolled: 1-line block ×3, first 2 shown]
	ds_read_b64 v[40:41], v171 offset:8840
.LBB0_5:
	s_or_b64 exec, exec, s[2:3]
	s_waitcnt lgkmcnt(5)
	v_add_f32_e32 v44, v36, v38
	v_add_f32_e32 v45, v37, v39
	s_waitcnt lgkmcnt(4)
	v_add_f32_e32 v44, v44, v28
	v_add_f32_e32 v45, v45, v29
	v_add_f32_e32 v44, v44, v30
	v_add_f32_e32 v45, v45, v31
	s_waitcnt lgkmcnt(3)
	v_add_f32_e32 v44, v44, v20
	v_add_f32_e32 v45, v45, v21
	;; [unrolled: 5-line block ×5, first 2 shown]
	v_add_f32_e32 v44, v42, v38
	v_add_f32_e32 v45, v43, v39
	v_sub_f32_e32 v38, v38, v42
	v_sub_f32_e32 v39, v39, v43
	s_load_dwordx2 s[18:19], s[4:5], 0x8
	v_mul_f32_e32 v42, 0xbf0a6770, v39
	s_mov_b32 s4, 0x3f575c64
	v_mul_f32_e32 v46, 0xbf0a6770, v38
	v_mul_f32_e32 v48, 0xbf68dda4, v39
	s_mov_b32 s5, 0x3ed4b147
	v_mul_f32_e32 v50, 0xbf68dda4, v38
	;; [unrolled: 3-line block ×5, first 2 shown]
	v_fma_f32 v43, v44, s4, -v42
	v_mov_b32_e32 v47, v46
	v_fmac_f32_e32 v42, 0x3f575c64, v44
	v_fma_f32 v49, v44, s5, -v48
	v_mov_b32_e32 v51, v50
	v_fmac_f32_e32 v48, 0x3ed4b147, v44
	v_fma_f32 v53, v44, s8, -v52
	v_mov_b32_e32 v55, v54
	v_fmac_f32_e32 v52, 0xbe11bafb, v44
	v_fma_f32 v57, v44, s9, -v56
	v_mov_b32_e32 v59, v58
	v_fmac_f32_e32 v56, 0xbf27a4f4, v44
	v_fma_f32 v60, v44, s16, -v39
	v_mov_b32_e32 v61, v38
	v_fmac_f32_e32 v39, 0xbf75a155, v44
	v_add_f32_e32 v43, v36, v43
	v_fmac_f32_e32 v47, 0x3f575c64, v45
	v_add_f32_e32 v42, v36, v42
	v_fma_f32 v46, v45, s4, -v46
	v_add_f32_e32 v49, v36, v49
	v_fmac_f32_e32 v51, 0x3ed4b147, v45
	v_add_f32_e32 v48, v36, v48
	v_fma_f32 v50, v45, s5, -v50
	;; [unrolled: 4-line block ×5, first 2 shown]
	v_add_f32_e32 v39, v35, v29
	v_sub_f32_e32 v29, v29, v35
	v_add_f32_e32 v47, v37, v47
	v_add_f32_e32 v46, v37, v46
	v_add_f32_e32 v51, v37, v51
	v_add_f32_e32 v50, v37, v50
	v_add_f32_e32 v55, v37, v55
	v_add_f32_e32 v54, v37, v54
	v_add_f32_e32 v59, v37, v59
	v_add_f32_e32 v58, v37, v58
	v_add_f32_e32 v61, v37, v61
	v_add_f32_e32 v37, v37, v38
	v_add_f32_e32 v38, v34, v28
	v_sub_f32_e32 v28, v28, v34
	v_mul_f32_e32 v34, 0xbf68dda4, v29
	v_fma_f32 v35, v38, s5, -v34
	v_add_f32_e32 v35, v35, v43
	v_mul_f32_e32 v43, 0xbf68dda4, v28
	v_fmac_f32_e32 v34, 0x3ed4b147, v38
	v_mov_b32_e32 v44, v43
	v_add_f32_e32 v34, v34, v42
	v_fma_f32 v42, v39, s5, -v43
	v_mul_f32_e32 v43, 0xbf4178ce, v29
	v_fmac_f32_e32 v44, 0x3ed4b147, v39
	v_add_f32_e32 v42, v42, v46
	v_fma_f32 v45, v38, s9, -v43
	v_mul_f32_e32 v46, 0xbf4178ce, v28
	v_fmac_f32_e32 v43, 0xbf27a4f4, v38
	v_add_f32_e32 v44, v44, v47
	v_mov_b32_e32 v47, v46
	v_add_f32_e32 v43, v43, v48
	v_fma_f32 v46, v39, s9, -v46
	v_mul_f32_e32 v48, 0x3e903f40, v29
	v_add_f32_e32 v45, v45, v49
	v_fmac_f32_e32 v47, 0xbf27a4f4, v39
	v_add_f32_e32 v46, v46, v50
	v_fma_f32 v49, v38, s16, -v48
	v_mul_f32_e32 v50, 0x3e903f40, v28
	v_fmac_f32_e32 v48, 0xbf75a155, v38
	v_add_f32_e32 v47, v47, v51
	v_mov_b32_e32 v51, v50
	v_add_f32_e32 v48, v48, v52
	v_fma_f32 v50, v39, s16, -v50
	v_mul_f32_e32 v52, 0x3f7d64f0, v29
	v_add_f32_e32 v49, v49, v53
	v_add_f32_e32 v50, v50, v54
	v_fma_f32 v53, v38, s8, -v52
	v_mul_f32_e32 v54, 0x3f7d64f0, v28
	v_mul_f32_e32 v28, 0x3f0a6770, v28
	v_add_f32_e32 v53, v53, v57
	v_fmac_f32_e32 v52, 0xbe11bafb, v38
	v_mul_f32_e32 v29, 0x3f0a6770, v29
	v_mov_b32_e32 v57, v28
	v_fma_f32 v28, v39, s4, -v28
	v_add_f32_e32 v52, v52, v56
	v_fma_f32 v56, v38, s4, -v29
	v_fmac_f32_e32 v29, 0x3f575c64, v38
	v_add_f32_e32 v28, v28, v37
	v_add_f32_e32 v37, v33, v31
	v_sub_f32_e32 v31, v31, v33
	v_add_f32_e32 v29, v29, v36
	v_add_f32_e32 v36, v32, v30
	v_sub_f32_e32 v30, v30, v32
	v_mul_f32_e32 v32, 0xbf7d64f0, v31
	v_fma_f32 v33, v36, s8, -v32
	v_fmac_f32_e32 v51, 0xbf75a155, v39
	v_add_f32_e32 v33, v33, v35
	v_mul_f32_e32 v35, 0xbf7d64f0, v30
	v_fmac_f32_e32 v32, 0xbe11bafb, v36
	v_add_f32_e32 v51, v51, v55
	v_mov_b32_e32 v55, v54
	v_mov_b32_e32 v38, v35
	v_add_f32_e32 v32, v32, v34
	v_fma_f32 v34, v37, s8, -v35
	v_mul_f32_e32 v35, 0x3e903f40, v31
	v_fmac_f32_e32 v55, 0xbe11bafb, v39
	v_fma_f32 v54, v39, s8, -v54
	v_fmac_f32_e32 v57, 0x3f575c64, v39
	v_fma_f32 v39, v36, s16, -v35
	v_fmac_f32_e32 v35, 0xbf75a155, v36
	v_fmac_f32_e32 v38, 0xbe11bafb, v37
	v_add_f32_e32 v34, v34, v42
	v_mul_f32_e32 v42, 0x3e903f40, v30
	v_add_f32_e32 v35, v35, v43
	v_mul_f32_e32 v43, 0x3f68dda4, v31
	v_add_f32_e32 v38, v38, v44
	v_add_f32_e32 v39, v39, v45
	v_mov_b32_e32 v44, v42
	v_fma_f32 v42, v37, s16, -v42
	v_fma_f32 v45, v36, s5, -v43
	v_fmac_f32_e32 v43, 0x3ed4b147, v36
	v_fmac_f32_e32 v44, 0xbf75a155, v37
	v_add_f32_e32 v42, v42, v46
	v_mul_f32_e32 v46, 0x3f68dda4, v30
	v_add_f32_e32 v43, v43, v48
	v_mul_f32_e32 v48, 0xbf0a6770, v31
	v_add_f32_e32 v44, v44, v47
	v_add_f32_e32 v45, v45, v49
	v_mov_b32_e32 v47, v46
	v_fma_f32 v46, v37, s5, -v46
	v_fma_f32 v49, v36, s4, -v48
	v_fmac_f32_e32 v48, 0x3f575c64, v36
	v_mul_f32_e32 v31, 0xbf4178ce, v31
	v_add_f32_e32 v46, v46, v50
	v_mul_f32_e32 v50, 0xbf0a6770, v30
	v_add_f32_e32 v48, v48, v52
	v_fma_f32 v52, v36, s9, -v31
	v_mul_f32_e32 v30, 0xbf4178ce, v30
	v_fmac_f32_e32 v31, 0xbf27a4f4, v36
	v_add_f32_e32 v49, v49, v53
	v_mov_b32_e32 v53, v30
	v_add_f32_e32 v29, v31, v29
	v_fma_f32 v30, v37, s9, -v30
	v_add_f32_e32 v31, v27, v21
	v_sub_f32_e32 v21, v21, v27
	v_add_f32_e32 v28, v30, v28
	v_add_f32_e32 v30, v26, v20
	v_sub_f32_e32 v20, v20, v26
	v_mul_f32_e32 v26, 0xbf4178ce, v21
	v_fma_f32 v27, v30, s9, -v26
	v_fmac_f32_e32 v47, 0x3ed4b147, v37
	v_add_f32_e32 v27, v27, v33
	v_mul_f32_e32 v33, 0xbf4178ce, v20
	v_fmac_f32_e32 v26, 0xbf27a4f4, v30
	v_add_f32_e32 v47, v47, v51
	v_mov_b32_e32 v51, v50
	v_mov_b32_e32 v36, v33
	v_add_f32_e32 v26, v26, v32
	v_fma_f32 v32, v31, s9, -v33
	v_mul_f32_e32 v33, 0x3f7d64f0, v21
	v_fmac_f32_e32 v51, 0x3f575c64, v37
	v_fma_f32 v50, v37, s4, -v50
	v_fmac_f32_e32 v53, 0xbf27a4f4, v37
	v_fmac_f32_e32 v36, 0xbf27a4f4, v31
	v_add_f32_e32 v32, v32, v34
	v_fma_f32 v34, v30, s8, -v33
	v_mul_f32_e32 v37, 0x3f7d64f0, v20
	v_fmac_f32_e32 v33, 0xbe11bafb, v30
	v_add_f32_e32 v36, v36, v38
	v_mov_b32_e32 v38, v37
	v_add_f32_e32 v33, v33, v35
	v_fma_f32 v35, v31, s8, -v37
	v_mul_f32_e32 v37, 0xbf0a6770, v21
	v_add_f32_e32 v34, v34, v39
	v_fma_f32 v39, v30, s4, -v37
	v_fmac_f32_e32 v37, 0x3f575c64, v30
	v_fmac_f32_e32 v38, 0xbe11bafb, v31
	v_add_f32_e32 v35, v35, v42
	v_mul_f32_e32 v42, 0xbf0a6770, v20
	v_add_f32_e32 v37, v37, v43
	v_mul_f32_e32 v43, 0xbe903f40, v21
	v_add_f32_e32 v38, v38, v44
	v_add_f32_e32 v39, v39, v45
	v_mov_b32_e32 v44, v42
	v_fma_f32 v42, v31, s4, -v42
	v_fma_f32 v45, v30, s16, -v43
	v_fmac_f32_e32 v43, 0xbf75a155, v30
	v_mul_f32_e32 v21, 0x3f68dda4, v21
	v_add_f32_e32 v42, v42, v46
	v_mul_f32_e32 v46, 0xbe903f40, v20
	v_add_f32_e32 v43, v43, v48
	v_fma_f32 v48, v30, s5, -v21
	v_mul_f32_e32 v20, 0x3f68dda4, v20
	v_fmac_f32_e32 v21, 0x3ed4b147, v30
	v_add_f32_e32 v45, v45, v49
	v_mov_b32_e32 v49, v20
	v_add_f32_e32 v21, v21, v29
	v_fma_f32 v20, v31, s5, -v20
	v_add_f32_e32 v29, v25, v23
	v_sub_f32_e32 v23, v23, v25
	v_add_f32_e32 v20, v20, v28
	v_add_f32_e32 v28, v24, v22
	v_sub_f32_e32 v22, v22, v24
	v_mul_f32_e32 v24, 0xbe903f40, v23
	v_fma_f32 v25, v28, s16, -v24
	v_add_f32_e32 v68, v25, v27
	v_mul_f32_e32 v25, 0xbe903f40, v22
	v_fmac_f32_e32 v24, 0xbf75a155, v28
	v_add_f32_e32 v70, v24, v26
	v_fma_f32 v24, v29, s16, -v25
	v_add_f32_e32 v71, v24, v32
	v_mul_f32_e32 v24, 0x3f0a6770, v23
	v_mov_b32_e32 v27, v25
	v_fma_f32 v25, v28, s4, -v24
	v_add_f32_e32 v72, v25, v34
	v_mul_f32_e32 v25, 0x3f0a6770, v22
	v_fmac_f32_e32 v24, 0x3f575c64, v28
	v_add_f32_e32 v74, v24, v33
	v_fma_f32 v24, v29, s4, -v25
	v_add_f32_e32 v75, v24, v35
	v_mul_f32_e32 v24, 0xbf4178ce, v23
	v_mov_b32_e32 v26, v25
	v_fma_f32 v25, v28, s9, -v24
	v_add_f32_e32 v76, v25, v39
	v_mul_f32_e32 v25, 0xbf4178ce, v22
	v_fmac_f32_e32 v24, 0xbf27a4f4, v28
	v_add_f32_e32 v78, v24, v37
	v_fma_f32 v24, v29, s9, -v25
	v_fmac_f32_e32 v26, 0x3f575c64, v29
	v_add_f32_e32 v79, v24, v42
	v_mul_f32_e32 v24, 0x3f68dda4, v23
	v_add_f32_e32 v54, v54, v58
	v_fmac_f32_e32 v44, 0x3f575c64, v31
	v_add_f32_e32 v73, v26, v38
	v_mov_b32_e32 v26, v25
	v_fma_f32 v25, v28, s5, -v24
	v_add_f32_e32 v56, v56, v60
	v_add_f32_e32 v50, v50, v54
	;; [unrolled: 1-line block ×3, first 2 shown]
	v_mov_b32_e32 v47, v46
	v_fma_f32 v46, v31, s16, -v46
	v_add_f32_e32 v80, v25, v45
	v_mul_f32_e32 v25, 0x3f68dda4, v22
	v_fmac_f32_e32 v24, 0x3ed4b147, v28
	v_add_f32_e32 v52, v52, v56
	v_add_f32_e32 v46, v46, v50
	v_add_f32_e32 v82, v24, v43
	v_fma_f32 v24, v29, s5, -v25
	v_mul_f32_e32 v23, 0xbf7d64f0, v23
	v_add_f32_e32 v55, v55, v59
	v_add_f32_e32 v48, v48, v52
	v_fmac_f32_e32 v26, 0xbf27a4f4, v29
	v_add_f32_e32 v83, v24, v46
	v_fma_f32 v24, v28, s8, -v23
	v_mul_f32_e32 v22, 0xbf7d64f0, v22
	v_add_f32_e32 v51, v51, v55
	v_fmac_f32_e32 v47, 0xbf75a155, v31
	v_add_f32_e32 v77, v26, v44
	v_mov_b32_e32 v26, v25
	v_add_f32_e32 v84, v24, v48
	v_mov_b32_e32 v24, v22
	v_fmac_f32_e32 v23, 0xbe11bafb, v28
	v_sub_f32_e32 v39, v3, v41
	v_add_f32_e32 v57, v57, v61
	v_add_f32_e32 v47, v47, v51
	v_fmac_f32_e32 v27, 0xbf75a155, v29
	v_fmac_f32_e32 v26, 0x3ed4b147, v29
	;; [unrolled: 1-line block ×3, first 2 shown]
	v_add_f32_e32 v86, v23, v21
	v_fma_f32 v21, v29, s8, -v22
	v_mul_f32_e32 v29, 0xbf0a6770, v39
	v_add_f32_e32 v53, v53, v57
	v_fmac_f32_e32 v49, 0x3ed4b147, v31
	v_add_f32_e32 v81, v26, v47
	v_add_f32_e32 v87, v21, v20
	;; [unrolled: 1-line block ×3, first 2 shown]
	v_sub_f32_e32 v47, v2, v40
	v_mov_b32_e32 v22, v29
	v_add_f32_e32 v49, v49, v53
	v_add_f32_e32 v21, v41, v3
	v_mul_f32_e32 v31, 0xbf0a6770, v47
	v_fmac_f32_e32 v22, 0x3f575c64, v20
	v_add_f32_e32 v85, v24, v49
	v_add_f32_e32 v24, v22, v0
	v_fma_f32 v22, v21, s4, -v31
	v_mul_f32_e32 v33, 0xbf68dda4, v39
	v_add_f32_e32 v25, v22, v1
	v_mov_b32_e32 v22, v33
	v_add_f32_e32 v69, v27, v36
	v_mul_f32_e32 v36, 0xbf68dda4, v47
	v_fmac_f32_e32 v22, 0x3ed4b147, v20
	v_sub_f32_e32 v44, v9, v19
	v_add_f32_e32 v26, v22, v0
	v_fma_f32 v22, v21, s5, -v36
	v_mul_f32_e32 v32, 0xbf68dda4, v44
	v_add_f32_e32 v27, v22, v1
	v_add_f32_e32 v22, v18, v8
	v_sub_f32_e32 v57, v8, v18
	v_mov_b32_e32 v28, v32
	v_add_f32_e32 v23, v19, v9
	v_mul_f32_e32 v34, 0xbf68dda4, v57
	v_fmac_f32_e32 v28, 0x3ed4b147, v22
	v_add_f32_e32 v28, v28, v24
	v_fma_f32 v24, v23, s5, -v34
	v_mul_f32_e32 v37, 0xbf4178ce, v44
	v_add_f32_e32 v30, v24, v25
	v_mov_b32_e32 v24, v37
	v_mul_f32_e32 v43, 0xbf4178ce, v57
	v_fmac_f32_e32 v24, 0xbf27a4f4, v22
	v_sub_f32_e32 v54, v11, v17
	v_add_f32_e32 v26, v24, v26
	v_fma_f32 v24, v23, s9, -v43
	v_mul_f32_e32 v35, 0xbf7d64f0, v54
	v_add_f32_e32 v27, v24, v27
	v_add_f32_e32 v24, v16, v10
	v_sub_f32_e32 v60, v10, v16
	v_mov_b32_e32 v42, v35
	v_add_f32_e32 v25, v17, v11
	v_mul_f32_e32 v38, 0xbf7d64f0, v60
	v_fmac_f32_e32 v42, 0xbe11bafb, v24
	v_add_f32_e32 v28, v42, v28
	v_fma_f32 v42, v25, s8, -v38
	v_mul_f32_e32 v45, 0x3e903f40, v54
	v_add_f32_e32 v30, v42, v30
	v_mov_b32_e32 v42, v45
	;; [unrolled: 18-line block ×3, first 2 shown]
	v_mul_f32_e32 v58, 0x3f7d64f0, v64
	v_fmac_f32_e32 v28, 0xbe11bafb, v26
	v_sub_f32_e32 v63, v15, v5
	v_add_f32_e32 v48, v28, v48
	v_fma_f32 v28, v27, s8, -v58
	v_mul_f32_e32 v52, 0xbe903f40, v63
	v_add_f32_e32 v49, v28, v49
	v_add_f32_e32 v28, v4, v14
	v_sub_f32_e32 v65, v14, v4
	v_mov_b32_e32 v61, v52
	v_add_f32_e32 v30, v5, v15
	v_mul_f32_e32 v56, 0xbe903f40, v65
	v_fmac_f32_e32 v61, 0xbf75a155, v28
	v_add_f32_e32 v50, v61, v50
	v_fma_f32 v61, v30, s16, -v56
	v_add_f32_e32 v51, v61, v51
	v_mul_f32_e32 v61, 0x3f0a6770, v63
	v_mov_b32_e32 v88, v61
	v_mul_f32_e32 v62, 0x3f0a6770, v65
	v_fmac_f32_e32 v88, 0x3f575c64, v28
	v_add_f32_e32 v48, v88, v48
	v_fma_f32 v88, v30, s4, -v62
	v_add_co_u32_e32 v96, vcc, 55, v172
	v_add_f32_e32 v49, v88, v49
	v_mul_lo_u16_e32 v88, 11, v172
	v_lshlrev_b32_e32 v174, 3, v88
	v_mul_u32_u24_e32 v173, 11, v96
	s_waitcnt lgkmcnt(0)
	; wave barrier
	s_waitcnt lgkmcnt(0)
	ds_write2_b64 v174, v[66:67], v[68:69] offset1:1
	ds_write2_b64 v174, v[72:73], v[76:77] offset0:2 offset1:3
	ds_write2_b64 v174, v[80:81], v[84:85] offset0:4 offset1:5
	ds_write2_b64 v174, v[86:87], v[82:83] offset0:6 offset1:7
	ds_write2_b64 v174, v[78:79], v[74:75] offset0:8 offset1:9
	ds_write_b64 v174, v[70:71] offset:80
	s_and_saveexec_b64 s[2:3], s[0:1]
	s_cbranch_execz .LBB0_7
; %bb.6:
	v_mul_f32_e32 v70, 0xbf27a4f4, v21
	v_mov_b32_e32 v66, v70
	v_mul_f32_e32 v71, 0xbe11bafb, v23
	v_fmac_f32_e32 v66, 0x3f4178ce, v47
	v_mov_b32_e32 v67, v71
	v_add_f32_e32 v66, v66, v1
	v_fmac_f32_e32 v67, 0xbf7d64f0, v57
	v_mul_f32_e32 v92, 0x3f575c64, v25
	v_add_f32_e32 v66, v67, v66
	v_mov_b32_e32 v67, v92
	v_fmac_f32_e32 v67, 0x3f0a6770, v60
	v_mul_f32_e32 v93, 0xbf75a155, v27
	v_add_f32_e32 v66, v67, v66
	v_mov_b32_e32 v67, v93
	;; [unrolled: 4-line block ×4, first 2 shown]
	v_mul_f32_e32 v97, 0x3f7d64f0, v44
	v_fmac_f32_e32 v70, 0xbf4178ce, v47
	v_fmac_f32_e32 v66, 0xbf27a4f4, v20
	v_mov_b32_e32 v68, v97
	v_add_f32_e32 v70, v70, v1
	v_fmac_f32_e32 v71, 0x3f7d64f0, v57
	v_add_f32_e32 v66, v66, v0
	v_fmac_f32_e32 v68, 0xbe11bafb, v22
	v_mul_f32_e32 v98, 0xbf0a6770, v54
	v_add_f32_e32 v70, v71, v70
	v_fmac_f32_e32 v92, 0xbf0a6770, v60
	v_add_f32_e32 v66, v68, v66
	v_mov_b32_e32 v68, v98
	v_add_f32_e32 v70, v92, v70
	v_fmac_f32_e32 v93, 0xbe903f40, v64
	v_fmac_f32_e32 v68, 0x3f575c64, v24
	v_mul_f32_e32 v99, 0xbe903f40, v59
	v_add_f32_e32 v70, v93, v70
	v_fmac_f32_e32 v94, 0x3f68dda4, v65
	v_add_f32_e32 v66, v68, v66
	v_mov_b32_e32 v68, v99
	v_add_f32_e32 v71, v94, v70
	v_fma_f32 v70, v20, s9, -v95
	v_fmac_f32_e32 v68, 0xbf75a155, v26
	v_mul_f32_e32 v100, 0x3f68dda4, v63
	v_add_f32_e32 v70, v70, v0
	v_fma_f32 v92, v22, s8, -v97
	v_add_f32_e32 v66, v68, v66
	v_mov_b32_e32 v68, v100
	v_add_f32_e32 v70, v92, v70
	v_fma_f32 v92, v24, s4, -v98
	v_fmac_f32_e32 v68, 0x3ed4b147, v28
	v_mul_f32_e32 v101, 0xbe903f40, v47
	v_add_f32_e32 v70, v92, v70
	v_fma_f32 v92, v26, s16, -v99
	v_add_f32_e32 v66, v68, v66
	v_mov_b32_e32 v68, v101
	v_mul_f32_e32 v102, 0x3f0a6770, v57
	v_add_f32_e32 v70, v92, v70
	v_fma_f32 v92, v28, s5, -v100
	v_mul_f32_e32 v47, 0xbf7d64f0, v47
	v_fmac_f32_e32 v68, 0xbf75a155, v21
	v_mov_b32_e32 v69, v102
	v_add_f32_e32 v70, v92, v70
	v_mov_b32_e32 v92, v47
	v_mul_f32_e32 v57, 0x3e903f40, v57
	v_add_f32_e32 v68, v68, v1
	v_fmac_f32_e32 v69, 0x3f575c64, v23
	v_mul_f32_e32 v103, 0xbf4178ce, v60
	v_fmac_f32_e32 v92, 0xbe11bafb, v21
	v_mov_b32_e32 v93, v57
	v_add_f32_e32 v68, v69, v68
	v_mov_b32_e32 v69, v103
	v_add_f32_e32 v92, v92, v1
	v_fmac_f32_e32 v93, 0xbf75a155, v23
	v_fmac_f32_e32 v69, 0xbf27a4f4, v25
	v_mul_f32_e32 v104, 0x3f68dda4, v64
	v_add_f32_e32 v92, v93, v92
	v_mul_f32_e32 v93, 0x3f68dda4, v60
	v_add_f32_e32 v68, v69, v68
	v_mov_b32_e32 v69, v104
	v_mov_b32_e32 v60, v93
	v_fmac_f32_e32 v69, 0x3ed4b147, v27
	v_mul_f32_e32 v105, 0xbf7d64f0, v65
	v_fmac_f32_e32 v60, 0x3ed4b147, v25
	v_mul_f32_e32 v64, 0xbf0a6770, v64
	v_add_f32_e32 v68, v69, v68
	v_mov_b32_e32 v69, v105
	v_add_f32_e32 v60, v60, v92
	v_mov_b32_e32 v92, v64
	v_fmac_f32_e32 v69, 0xbe11bafb, v30
	v_mul_f32_e32 v106, 0xbe903f40, v39
	v_fmac_f32_e32 v92, 0x3f575c64, v27
	v_mul_f32_e32 v65, 0xbf4178ce, v65
	v_add_f32_e32 v69, v69, v68
	v_fma_f32 v68, v20, s16, -v106
	v_mul_f32_e32 v107, 0x3f0a6770, v44
	v_add_f32_e32 v60, v92, v60
	v_mov_b32_e32 v92, v65
	v_add_f32_e32 v68, v68, v0
	v_fma_f32 v108, v22, s4, -v107
	v_fmac_f32_e32 v92, 0xbf27a4f4, v30
	v_mul_f32_e32 v39, 0xbf7d64f0, v39
	v_mul_f32_e32 v75, 0x3ed4b147, v21
	v_add_f32_e32 v68, v108, v68
	v_mul_f32_e32 v108, 0xbf4178ce, v54
	v_add_f32_e32 v60, v92, v60
	v_fma_f32 v92, v20, s8, -v39
	v_mul_f32_e32 v94, 0x3e903f40, v44
	v_mul_f32_e32 v79, 0xbf27a4f4, v23
	v_fma_f32 v109, v24, s9, -v108
	v_add_f32_e32 v92, v92, v0
	v_fma_f32 v44, v22, s16, -v94
	v_mul_f32_e32 v54, 0x3f68dda4, v54
	v_add_f32_e32 v36, v36, v75
	v_mul_f32_e32 v83, 0xbf75a155, v25
	v_add_f32_e32 v68, v109, v68
	;; [unrolled: 2-line block ×3, first 2 shown]
	v_fma_f32 v92, v24, s5, -v54
	v_add_f32_e32 v36, v36, v1
	v_add_f32_e32 v43, v43, v79
	v_mul_f32_e32 v87, 0xbe11bafb, v27
	v_fma_f32 v110, v26, s5, -v109
	v_add_f32_e32 v44, v92, v44
	v_mul_f32_e32 v92, 0xbf0a6770, v59
	v_add_f32_e32 v36, v43, v36
	v_add_f32_e32 v43, v53, v83
	v_mul_f32_e32 v74, 0x3ed4b147, v20
	v_mul_f32_e32 v91, 0x3f575c64, v30
	v_add_f32_e32 v68, v110, v68
	v_mul_f32_e32 v110, 0xbf7d64f0, v63
	v_fma_f32 v59, v26, s4, -v92
	v_mul_f32_e32 v63, 0xbf4178ce, v63
	v_add_f32_e32 v36, v43, v36
	v_add_f32_e32 v43, v58, v87
	v_mul_f32_e32 v78, 0xbf27a4f4, v22
	v_add_f32_e32 v44, v59, v44
	v_fma_f32 v59, v28, s9, -v63
	v_add_f32_e32 v36, v43, v36
	v_add_f32_e32 v43, v62, v91
	v_sub_f32_e32 v33, v74, v33
	v_add_f32_e32 v2, v2, v0
	v_mul_f32_e32 v82, 0xbf75a155, v24
	v_add_f32_e32 v59, v59, v44
	v_add_f32_e32 v44, v43, v36
	;; [unrolled: 1-line block ×3, first 2 shown]
	v_sub_f32_e32 v36, v78, v37
	v_add_f32_e32 v3, v3, v1
	v_add_f32_e32 v2, v8, v2
	v_mul_f32_e32 v86, 0xbe11bafb, v26
	v_add_f32_e32 v33, v36, v33
	v_sub_f32_e32 v36, v82, v45
	v_add_f32_e32 v3, v9, v3
	v_add_f32_e32 v2, v10, v2
	v_mul_f32_e32 v73, 0x3f575c64, v21
	v_mul_f32_e32 v90, 0x3f575c64, v28
	v_add_f32_e32 v33, v36, v33
	v_sub_f32_e32 v36, v86, v55
	v_add_f32_e32 v3, v11, v3
	v_add_f32_e32 v2, v12, v2
	v_mul_f32_e32 v77, 0x3ed4b147, v23
	v_add_f32_e32 v33, v36, v33
	v_sub_f32_e32 v36, v90, v61
	v_add_f32_e32 v31, v31, v73
	v_add_f32_e32 v3, v13, v3
	;; [unrolled: 1-line block ×3, first 2 shown]
	v_mul_f32_e32 v81, 0xbe11bafb, v25
	v_add_f32_e32 v43, v36, v33
	v_add_f32_e32 v31, v31, v1
	;; [unrolled: 1-line block ×5, first 2 shown]
	v_fma_f32 v4, v21, s16, -v101
	v_mul_f32_e32 v85, 0xbf27a4f4, v27
	v_add_f32_e32 v31, v33, v31
	v_add_f32_e32 v33, v38, v81
	;; [unrolled: 1-line block ×4, first 2 shown]
	v_fma_f32 v5, v23, s4, -v102
	v_mul_f32_e32 v72, 0x3f575c64, v20
	v_mul_f32_e32 v89, 0xbf75a155, v30
	v_add_f32_e32 v31, v33, v31
	v_add_f32_e32 v33, v46, v85
	;; [unrolled: 1-line block ×3, first 2 shown]
	v_fma_f32 v5, v25, s9, -v103
	v_mul_f32_e32 v76, 0x3ed4b147, v22
	v_add_f32_e32 v31, v33, v31
	v_add_f32_e32 v33, v56, v89
	v_sub_f32_e32 v29, v72, v29
	v_add_f32_e32 v2, v6, v2
	v_add_f32_e32 v4, v5, v4
	v_fma_f32 v5, v27, s5, -v104
	v_fma_f32 v6, v21, s8, -v47
	v_mul_f32_e32 v80, 0xbe11bafb, v24
	v_add_f32_e32 v33, v33, v31
	v_add_f32_e32 v29, v29, v0
	v_sub_f32_e32 v31, v76, v32
	v_add_f32_e32 v4, v5, v4
	v_fma_f32 v5, v30, s8, -v105
	v_fmac_f32_e32 v106, 0xbf75a155, v20
	v_add_f32_e32 v1, v6, v1
	v_fma_f32 v6, v23, s16, -v57
	v_fmac_f32_e32 v39, 0xbe11bafb, v20
	v_mul_f32_e32 v84, 0xbf27a4f4, v26
	v_add_f32_e32 v29, v31, v29
	v_sub_f32_e32 v31, v80, v35
	v_add_f32_e32 v3, v7, v3
	v_add_f32_e32 v5, v5, v4
	;; [unrolled: 1-line block ×3, first 2 shown]
	v_fmac_f32_e32 v107, 0x3f575c64, v22
	v_add_f32_e32 v1, v6, v1
	v_fma_f32 v6, v25, s5, -v93
	v_add_f32_e32 v0, v39, v0
	v_fmac_f32_e32 v94, 0xbf75a155, v22
	v_mul_f32_e32 v88, 0xbf75a155, v28
	v_add_f32_e32 v29, v31, v29
	v_sub_f32_e32 v31, v84, v42
	v_add_f32_e32 v3, v17, v3
	v_add_f32_e32 v2, v16, v2
	;; [unrolled: 1-line block ×3, first 2 shown]
	v_fmac_f32_e32 v108, 0xbf27a4f4, v24
	v_add_f32_e32 v1, v6, v1
	v_fma_f32 v6, v27, s4, -v64
	v_add_f32_e32 v0, v94, v0
	v_fmac_f32_e32 v54, 0x3ed4b147, v24
	v_add_f32_e32 v29, v31, v29
	v_sub_f32_e32 v31, v88, v52
	v_add_f32_e32 v3, v19, v3
	v_add_f32_e32 v2, v18, v2
	v_add_f32_e32 v4, v108, v4
	v_fmac_f32_e32 v109, 0x3ed4b147, v26
	v_add_f32_e32 v1, v6, v1
	v_fma_f32 v6, v30, s9, -v65
	v_add_f32_e32 v0, v54, v0
	v_fmac_f32_e32 v92, 0x3f575c64, v26
	v_fma_f32 v111, v28, s8, -v110
	v_add_f32_e32 v32, v31, v29
	v_add_f32_e32 v3, v41, v3
	;; [unrolled: 1-line block ×4, first 2 shown]
	v_fmac_f32_e32 v110, 0xbe11bafb, v28
	v_add_f32_e32 v1, v6, v1
	v_add_f32_e32 v0, v92, v0
	v_fmac_f32_e32 v63, 0xbf27a4f4, v28
	v_lshlrev_b32_e32 v6, 3, v173
	v_add_f32_e32 v68, v111, v68
	v_add_f32_e32 v4, v110, v4
	;; [unrolled: 1-line block ×3, first 2 shown]
	ds_write2_b64 v6, v[2:3], v[32:33] offset1:1
	ds_write2_b64 v6, v[43:44], v[59:60] offset0:2 offset1:3
	ds_write2_b64 v6, v[70:71], v[68:69] offset0:4 offset1:5
	;; [unrolled: 1-line block ×4, first 2 shown]
	ds_write_b64 v6, v[50:51] offset:80
.LBB0_7:
	s_or_b64 exec, exec, s[2:3]
	v_add_u32_e32 v0, 0x400, v171
	s_waitcnt lgkmcnt(0)
	; wave barrier
	s_waitcnt lgkmcnt(0)
	ds_read2_b64 v[72:75], v0 offset0:103 offset1:158
	v_add_u32_e32 v0, 0xc00, v171
	ds_read2_b64 v[76:79], v0 offset0:78 offset1:133
	v_add_u32_e32 v0, 0x1000, v171
	v_add_u32_e32 v1, 0x1800, v171
	;; [unrolled: 1-line block ×3, first 2 shown]
	ds_read2_b64 v[44:47], v171 offset1:55
	ds_read2_b64 v[80:83], v0 offset0:181 offset1:236
	ds_read2_b64 v[84:87], v1 offset0:156 offset1:211
	;; [unrolled: 1-line block ×6, first 2 shown]
	v_add_u32_e32 v0, 0x2000, v171
	ds_read2_b64 v[56:59], v0 offset0:10 offset1:65
	v_cmp_gt_u16_e64 s[2:3], 11, v172
                                        ; implicit-def: $vgpr68
                                        ; implicit-def: $vgpr94
	s_and_saveexec_b64 s[4:5], s[2:3]
	s_cbranch_execz .LBB0_9
; %bb.8:
	v_add_u32_e32 v0, 0x680, v171
	ds_read2_b64 v[48:51], v0 offset0:12 offset1:243
	v_add_u32_e32 v0, 0x1500, v171
	ds_read_b64 v[94:95], v171 offset:9152
	ds_read2_b64 v[68:71], v0 offset0:10 offset1:241
.LBB0_9:
	s_or_b64 exec, exec, s[4:5]
	s_movk_i32 s8, 0x75
	v_mul_lo_u16_sdwa v0, v172, s8 dst_sel:DWORD dst_unused:UNUSED_PAD src0_sel:BYTE_0 src1_sel:DWORD
	v_sub_u16_sdwa v1, v172, v0 dst_sel:DWORD dst_unused:UNUSED_PAD src0_sel:DWORD src1_sel:BYTE_1
	v_lshrrev_b16_e32 v1, 1, v1
	v_and_b32_e32 v1, 0x7f, v1
	v_add_u16_sdwa v0, v1, v0 dst_sel:DWORD dst_unused:UNUSED_PAD src0_sel:DWORD src1_sel:BYTE_1
	v_lshrrev_b16_e32 v97, 3, v0
	v_mul_lo_u16_e32 v0, 11, v97
	v_sub_u16_e32 v0, v172, v0
	v_and_b32_e32 v98, 0xff, v0
	v_lshlrev_b32_e32 v0, 5, v98
	global_load_dwordx4 v[8:11], v0, s[18:19] offset:16
	global_load_dwordx4 v[12:15], v0, s[18:19]
	v_mul_lo_u16_sdwa v0, v96, s8 dst_sel:DWORD dst_unused:UNUSED_PAD src0_sel:BYTE_0 src1_sel:DWORD
	v_sub_u16_sdwa v1, v96, v0 dst_sel:DWORD dst_unused:UNUSED_PAD src0_sel:DWORD src1_sel:BYTE_1
	v_lshrrev_b16_e32 v1, 1, v1
	v_and_b32_e32 v1, 0x7f, v1
	v_add_u16_sdwa v0, v1, v0 dst_sel:DWORD dst_unused:UNUSED_PAD src0_sel:DWORD src1_sel:BYTE_1
	v_lshrrev_b16_e32 v99, 3, v0
	v_mul_lo_u16_e32 v0, 11, v99
	v_sub_u16_e32 v0, v96, v0
	v_and_b32_e32 v100, 0xff, v0
	v_lshlrev_b32_e32 v0, 5, v100
	v_add_co_u32_e32 v88, vcc, 0x6e, v172
	global_load_dwordx4 v[20:23], v0, s[18:19]
	global_load_dwordx4 v[16:19], v0, s[18:19] offset:16
	v_mul_lo_u16_sdwa v0, v88, s8 dst_sel:DWORD dst_unused:UNUSED_PAD src0_sel:BYTE_0 src1_sel:DWORD
	v_sub_u16_sdwa v1, v88, v0 dst_sel:DWORD dst_unused:UNUSED_PAD src0_sel:DWORD src1_sel:BYTE_1
	v_lshrrev_b16_e32 v1, 1, v1
	v_and_b32_e32 v1, 0x7f, v1
	v_add_u16_sdwa v0, v1, v0 dst_sel:DWORD dst_unused:UNUSED_PAD src0_sel:DWORD src1_sel:BYTE_1
	v_lshrrev_b16_e32 v101, 3, v0
	v_mul_lo_u16_e32 v0, 11, v101
	v_sub_u16_e32 v0, v88, v0
	v_and_b32_e32 v102, 0xff, v0
	s_mov_b64 s[4:5], vcc
	v_lshlrev_b32_e32 v0, 5, v102
	v_add_co_u32_e32 v90, vcc, 0xa5, v172
	global_load_dwordx4 v[28:31], v0, s[18:19]
	global_load_dwordx4 v[24:27], v0, s[18:19] offset:16
	v_mul_lo_u16_sdwa v0, v90, s8 dst_sel:DWORD dst_unused:UNUSED_PAD src0_sel:BYTE_0 src1_sel:DWORD
	v_sub_u16_sdwa v1, v90, v0 dst_sel:DWORD dst_unused:UNUSED_PAD src0_sel:DWORD src1_sel:BYTE_1
	v_lshrrev_b16_e32 v1, 1, v1
	v_and_b32_e32 v1, 0x7f, v1
	v_add_u16_sdwa v0, v1, v0 dst_sel:DWORD dst_unused:UNUSED_PAD src0_sel:DWORD src1_sel:BYTE_1
	v_lshrrev_b16_e32 v103, 3, v0
	v_mul_lo_u16_e32 v0, 11, v103
	v_sub_u16_e32 v0, v90, v0
	v_and_b32_e32 v104, 0xff, v0
	s_movk_i32 s8, 0xdc
	v_lshlrev_b32_e32 v0, 5, v104
	s_mov_b32 s16, 0xba2f
	v_add_co_u32_e64 v92, s[8:9], s8, v172
	global_load_dwordx4 v[36:39], v0, s[18:19]
	global_load_dwordx4 v[32:35], v0, s[18:19] offset:16
	v_mul_u32_u24_sdwa v0, v92, s16 dst_sel:DWORD dst_unused:UNUSED_PAD src0_sel:WORD_0 src1_sel:DWORD
	v_lshrrev_b32_e32 v0, 19, v0
	v_mul_lo_u16_e32 v0, 11, v0
	v_sub_u16_e32 v105, v92, v0
	v_lshlrev_b16_e32 v0, 2, v105
	v_lshlrev_b32_e32 v0, 3, v0
	global_load_dwordx4 v[4:7], v0, s[18:19]
	s_nop 0
	global_load_dwordx4 v[0:3], v0, s[18:19] offset:16
	v_mul_u32_u24_e32 v97, 55, v97
	v_add_lshl_u32 v177, v97, v98, 3
	s_waitcnt lgkmcnt(0)
	; wave barrier
	s_waitcnt lgkmcnt(0)
	v_addc_co_u32_e64 v93, s[8:9], 0, 0, s[8:9]
	v_addc_co_u32_e64 v89, s[4:5], 0, 0, s[4:5]
	v_addc_co_u32_e64 v91, s[4:5], 0, 0, vcc
	v_lshlrev_b32_e32 v175, 3, v105
	s_waitcnt vmcnt(9)
	v_mul_f32_e32 v110, v81, v9
	s_waitcnt vmcnt(8)
	v_mul_f32_e32 v107, v72, v13
	v_mul_f32_e32 v108, v77, v15
	;; [unrolled: 1-line block ×5, first 2 shown]
	v_fmac_f32_e32 v107, v73, v12
	v_fma_f32 v73, v76, v14, -v108
	v_fma_f32 v76, v80, v8, -v110
	v_fmac_f32_e32 v111, v81, v8
	v_mul_f32_e32 v113, v84, v11
	v_mul_f32_e32 v112, v85, v11
	v_fmac_f32_e32 v113, v85, v10
	s_waitcnt vmcnt(7)
	v_mul_f32_e32 v114, v75, v21
	v_mul_f32_e32 v115, v74, v21
	v_fma_f32 v80, v74, v20, -v114
	v_mul_f32_e32 v74, v79, v23
	v_fma_f32 v81, v78, v22, -v74
	v_mul_f32_e32 v78, v78, v23
	s_waitcnt vmcnt(6)
	v_mul_f32_e32 v74, v83, v17
	v_fmac_f32_e32 v78, v79, v22
	v_fma_f32 v79, v82, v16, -v74
	v_mul_f32_e32 v74, v87, v19
	v_fmac_f32_e32 v115, v75, v20
	v_mul_f32_e32 v82, v82, v17
	v_fma_f32 v75, v86, v18, -v74
	v_fmac_f32_e32 v82, v83, v16
	s_waitcnt vmcnt(5)
	v_mul_f32_e32 v74, v65, v29
	v_mul_f32_e32 v83, v86, v19
	v_fma_f32 v85, v64, v28, -v74
	v_mul_f32_e32 v86, v64, v29
	v_mul_f32_e32 v64, v61, v31
	v_fma_f32 v72, v72, v12, -v106
	v_fmac_f32_e32 v83, v87, v18
	v_fma_f32 v87, v60, v30, -v64
	v_mul_f32_e32 v106, v60, v31
	s_waitcnt vmcnt(4)
	v_mul_f32_e32 v60, v53, v25
	v_fma_f32 v108, v52, v24, -v60
	v_mul_f32_e32 v52, v52, v25
	v_fmac_f32_e32 v52, v53, v24
	v_mul_f32_e32 v53, v57, v27
	v_fma_f32 v53, v56, v26, -v53
	v_mul_f32_e32 v110, v56, v27
	s_waitcnt vmcnt(3)
	v_mul_f32_e32 v56, v67, v37
	v_fmac_f32_e32 v109, v77, v14
	v_fma_f32 v77, v84, v10, -v112
	v_fma_f32 v112, v66, v36, -v56
	v_mul_f32_e32 v56, v63, v39
	v_mul_f32_e32 v117, v62, v39
	v_fma_f32 v116, v62, v38, -v56
	v_fmac_f32_e32 v117, v63, v38
	s_waitcnt vmcnt(2)
	v_mul_f32_e32 v56, v55, v33
	v_add_f32_e32 v63, v73, v76
	v_fma_f32 v118, v54, v32, -v56
	v_mul_f32_e32 v54, v54, v33
	s_waitcnt vmcnt(1)
	v_mul_f32_e32 v56, v51, v5
	v_fma_f32 v64, -0.5, v63, v44
	v_fmac_f32_e32 v110, v57, v26
	v_mul_f32_e32 v114, v66, v37
	v_fmac_f32_e32 v54, v55, v32
	v_mul_f32_e32 v55, v59, v35
	v_fma_f32 v56, v50, v4, -v56
	v_mul_f32_e32 v57, v50, v5
	v_mul_f32_e32 v50, v69, v7
	v_sub_f32_e32 v63, v107, v113
	v_mov_b32_e32 v66, v64
	v_fmac_f32_e32 v86, v65, v28
	v_fmac_f32_e32 v114, v67, v36
	v_fma_f32 v55, v58, v34, -v55
	v_mul_f32_e32 v119, v58, v35
	v_fma_f32 v50, v68, v6, -v50
	v_mul_f32_e32 v58, v68, v7
	v_fmac_f32_e32 v66, 0x3f737871, v63
	v_sub_f32_e32 v65, v109, v111
	v_sub_f32_e32 v67, v72, v73
	;; [unrolled: 1-line block ×3, first 2 shown]
	v_fmac_f32_e32 v64, 0xbf737871, v63
	v_fmac_f32_e32 v66, 0x3f167918, v65
	v_add_f32_e32 v67, v67, v68
	v_fmac_f32_e32 v64, 0xbf167918, v65
	v_fmac_f32_e32 v66, 0x3e9e377a, v67
	;; [unrolled: 1-line block ×3, first 2 shown]
	v_add_f32_e32 v67, v72, v77
	v_add_f32_e32 v62, v44, v72
	v_fma_f32 v44, -0.5, v67, v44
	v_mov_b32_e32 v68, v44
	v_fmac_f32_e32 v58, v69, v6
	v_fmac_f32_e32 v68, 0xbf737871, v65
	v_sub_f32_e32 v67, v73, v72
	v_sub_f32_e32 v69, v76, v77
	v_fmac_f32_e32 v44, 0x3f737871, v65
	v_add_f32_e32 v65, v109, v111
	v_fmac_f32_e32 v57, v51, v4
	s_waitcnt vmcnt(0)
	v_mul_f32_e32 v51, v71, v1
	v_fmac_f32_e32 v68, 0x3f167918, v63
	v_add_f32_e32 v67, v67, v69
	v_fmac_f32_e32 v44, 0xbf167918, v63
	v_fma_f32 v65, -0.5, v65, v45
	v_fma_f32 v51, v70, v0, -v51
	v_mul_f32_e32 v60, v70, v1
	v_fmac_f32_e32 v68, 0x3e9e377a, v67
	v_fmac_f32_e32 v44, 0x3e9e377a, v67
	v_sub_f32_e32 v70, v72, v77
	v_mov_b32_e32 v67, v65
	v_fmac_f32_e32 v60, v71, v0
	v_fmac_f32_e32 v67, 0xbf737871, v70
	v_sub_f32_e32 v71, v73, v76
	v_sub_f32_e32 v69, v107, v109
	v_sub_f32_e32 v72, v113, v111
	v_fmac_f32_e32 v65, 0x3f737871, v70
	v_fmac_f32_e32 v67, 0xbf167918, v71
	v_add_f32_e32 v69, v69, v72
	v_fmac_f32_e32 v65, 0x3f167918, v71
	v_fmac_f32_e32 v67, 0x3e9e377a, v69
	;; [unrolled: 1-line block ×3, first 2 shown]
	v_add_f32_e32 v69, v107, v113
	v_add_f32_e32 v63, v45, v107
	v_fma_f32 v45, -0.5, v69, v45
	v_mov_b32_e32 v69, v45
	v_add_f32_e32 v62, v62, v73
	v_fmac_f32_e32 v69, 0x3f737871, v71
	v_sub_f32_e32 v72, v109, v107
	v_sub_f32_e32 v73, v111, v113
	v_fmac_f32_e32 v45, 0xbf737871, v71
	v_fmac_f32_e32 v69, 0xbf167918, v70
	v_add_f32_e32 v72, v72, v73
	v_fmac_f32_e32 v45, 0x3f167918, v70
	v_add_f32_e32 v71, v81, v79
	v_fmac_f32_e32 v69, 0x3e9e377a, v72
	v_fmac_f32_e32 v45, 0x3e9e377a, v72
	v_fma_f32 v72, -0.5, v71, v46
	v_add_f32_e32 v62, v62, v76
	v_sub_f32_e32 v71, v115, v83
	v_mov_b32_e32 v74, v72
	v_add_f32_e32 v62, v62, v77
	v_fmac_f32_e32 v74, 0x3f737871, v71
	v_sub_f32_e32 v73, v78, v82
	v_sub_f32_e32 v76, v80, v81
	;; [unrolled: 1-line block ×3, first 2 shown]
	v_fmac_f32_e32 v72, 0xbf737871, v71
	v_fmac_f32_e32 v74, 0x3f167918, v73
	v_add_f32_e32 v76, v76, v77
	v_fmac_f32_e32 v72, 0xbf167918, v73
	v_fmac_f32_e32 v74, 0x3e9e377a, v76
	;; [unrolled: 1-line block ×3, first 2 shown]
	v_add_f32_e32 v76, v80, v75
	v_add_f32_e32 v70, v46, v80
	v_fma_f32 v46, -0.5, v76, v46
	v_mov_b32_e32 v76, v46
	v_add_f32_e32 v70, v70, v81
	v_fmac_f32_e32 v76, 0xbf737871, v73
	v_fmac_f32_e32 v46, 0x3f737871, v73
	v_add_f32_e32 v73, v78, v82
	v_add_f32_e32 v70, v70, v79
	v_sub_f32_e32 v77, v81, v80
	v_sub_f32_e32 v84, v79, v75
	v_fma_f32 v73, -0.5, v73, v47
	v_add_f32_e32 v70, v70, v75
	v_fmac_f32_e32 v76, 0x3f167918, v71
	v_add_f32_e32 v77, v77, v84
	v_fmac_f32_e32 v46, 0xbf167918, v71
	v_sub_f32_e32 v80, v80, v75
	v_mov_b32_e32 v75, v73
	v_fmac_f32_e32 v76, 0x3e9e377a, v77
	v_fmac_f32_e32 v46, 0x3e9e377a, v77
	;; [unrolled: 1-line block ×3, first 2 shown]
	v_sub_f32_e32 v79, v81, v79
	v_sub_f32_e32 v77, v115, v78
	;; [unrolled: 1-line block ×3, first 2 shown]
	v_fmac_f32_e32 v73, 0x3f737871, v80
	v_fmac_f32_e32 v75, 0xbf167918, v79
	v_add_f32_e32 v77, v77, v81
	v_fmac_f32_e32 v73, 0x3f167918, v79
	v_fmac_f32_e32 v75, 0x3e9e377a, v77
	;; [unrolled: 1-line block ×3, first 2 shown]
	v_add_f32_e32 v77, v115, v83
	v_add_f32_e32 v71, v47, v115
	v_fmac_f32_e32 v47, -0.5, v77
	v_mov_b32_e32 v77, v47
	v_fmac_f32_e32 v77, 0x3f737871, v79
	v_fmac_f32_e32 v47, 0xbf737871, v79
	v_add_f32_e32 v79, v87, v108
	v_add_f32_e32 v71, v71, v78
	v_fmac_f32_e32 v77, 0xbf167918, v80
	v_fmac_f32_e32 v47, 0x3f167918, v80
	v_fma_f32 v80, -0.5, v79, v40
	v_fmac_f32_e32 v106, v61, v30
	v_add_f32_e32 v71, v71, v82
	v_sub_f32_e32 v78, v78, v115
	v_sub_f32_e32 v81, v82, v83
	;; [unrolled: 1-line block ×3, first 2 shown]
	v_mov_b32_e32 v82, v80
	v_add_f32_e32 v71, v71, v83
	v_add_f32_e32 v78, v78, v81
	v_fmac_f32_e32 v82, 0x3f737871, v79
	v_sub_f32_e32 v81, v106, v52
	v_sub_f32_e32 v83, v85, v87
	;; [unrolled: 1-line block ×3, first 2 shown]
	v_fmac_f32_e32 v80, 0xbf737871, v79
	v_fmac_f32_e32 v82, 0x3f167918, v81
	v_add_f32_e32 v83, v83, v84
	v_fmac_f32_e32 v80, 0xbf167918, v81
	v_fmac_f32_e32 v82, 0x3e9e377a, v83
	v_fmac_f32_e32 v80, 0x3e9e377a, v83
	v_add_f32_e32 v83, v85, v53
	v_fmac_f32_e32 v77, 0x3e9e377a, v78
	v_fmac_f32_e32 v47, 0x3e9e377a, v78
	v_add_f32_e32 v78, v40, v85
	v_fma_f32 v40, -0.5, v83, v40
	v_fmac_f32_e32 v119, v59, v34
	v_mul_f32_e32 v59, v95, v3
	v_mov_b32_e32 v84, v40
	v_fma_f32 v59, v94, v2, -v59
	v_mul_f32_e32 v61, v94, v3
	v_add_f32_e32 v78, v78, v87
	v_fmac_f32_e32 v84, 0xbf737871, v81
	v_sub_f32_e32 v83, v87, v85
	v_sub_f32_e32 v94, v108, v53
	v_fmac_f32_e32 v40, 0x3f737871, v81
	v_add_f32_e32 v81, v106, v52
	v_add_f32_e32 v78, v78, v108
	v_fmac_f32_e32 v84, 0x3f167918, v79
	v_add_f32_e32 v83, v83, v94
	v_fmac_f32_e32 v40, 0xbf167918, v79
	v_fma_f32 v81, -0.5, v81, v41
	v_add_f32_e32 v78, v78, v53
	v_fmac_f32_e32 v84, 0x3e9e377a, v83
	v_fmac_f32_e32 v40, 0x3e9e377a, v83
	v_sub_f32_e32 v53, v85, v53
	v_mov_b32_e32 v83, v81
	v_fmac_f32_e32 v83, 0xbf737871, v53
	v_sub_f32_e32 v87, v87, v108
	v_sub_f32_e32 v85, v86, v106
	v_sub_f32_e32 v94, v110, v52
	v_fmac_f32_e32 v81, 0x3f737871, v53
	v_fmac_f32_e32 v83, 0xbf167918, v87
	v_add_f32_e32 v85, v85, v94
	v_fmac_f32_e32 v81, 0x3f167918, v87
	v_fmac_f32_e32 v83, 0x3e9e377a, v85
	v_fmac_f32_e32 v81, 0x3e9e377a, v85
	v_add_f32_e32 v85, v86, v110
	v_add_f32_e32 v79, v41, v86
	v_fma_f32 v41, -0.5, v85, v41
	v_add_f32_e32 v79, v79, v106
	v_mov_b32_e32 v85, v41
	v_add_f32_e32 v79, v79, v52
	v_fmac_f32_e32 v85, 0x3f737871, v87
	v_sub_f32_e32 v86, v106, v86
	v_sub_f32_e32 v52, v52, v110
	v_fmac_f32_e32 v41, 0xbf737871, v87
	v_fmac_f32_e32 v85, 0xbf167918, v53
	v_add_f32_e32 v52, v86, v52
	v_fmac_f32_e32 v41, 0x3f167918, v53
	v_fmac_f32_e32 v85, 0x3e9e377a, v52
	v_fmac_f32_e32 v41, 0x3e9e377a, v52
	v_add_f32_e32 v52, v42, v112
	v_add_f32_e32 v52, v52, v116
	;; [unrolled: 1-line block ×5, first 2 shown]
	v_fma_f32 v94, -0.5, v52, v42
	v_sub_f32_e32 v52, v114, v119
	v_mov_b32_e32 v106, v94
	v_fmac_f32_e32 v61, v95, v2
	v_fmac_f32_e32 v106, 0x3f737871, v52
	v_sub_f32_e32 v53, v117, v54
	v_sub_f32_e32 v87, v112, v116
	;; [unrolled: 1-line block ×3, first 2 shown]
	v_fmac_f32_e32 v94, 0xbf737871, v52
	v_fmac_f32_e32 v106, 0x3f167918, v53
	v_add_f32_e32 v87, v87, v95
	v_fmac_f32_e32 v94, 0xbf167918, v53
	v_fmac_f32_e32 v106, 0x3e9e377a, v87
	;; [unrolled: 1-line block ×3, first 2 shown]
	v_add_f32_e32 v87, v112, v55
	v_fma_f32 v42, -0.5, v87, v42
	v_mov_b32_e32 v108, v42
	v_fmac_f32_e32 v108, 0xbf737871, v53
	v_fmac_f32_e32 v42, 0x3f737871, v53
	;; [unrolled: 1-line block ×4, first 2 shown]
	v_add_f32_e32 v52, v43, v114
	v_sub_f32_e32 v87, v116, v112
	v_sub_f32_e32 v95, v118, v55
	v_add_f32_e32 v52, v52, v117
	v_add_f32_e32 v87, v87, v95
	;; [unrolled: 1-line block ×3, first 2 shown]
	v_fmac_f32_e32 v108, 0x3e9e377a, v87
	v_fmac_f32_e32 v42, 0x3e9e377a, v87
	v_add_f32_e32 v87, v52, v119
	v_add_f32_e32 v52, v117, v54
	v_fma_f32 v95, -0.5, v52, v43
	v_sub_f32_e32 v52, v112, v55
	v_mov_b32_e32 v107, v95
	v_add_f32_e32 v63, v63, v109
	v_fmac_f32_e32 v107, 0xbf737871, v52
	v_sub_f32_e32 v53, v116, v118
	v_sub_f32_e32 v55, v114, v117
	;; [unrolled: 1-line block ×3, first 2 shown]
	v_fmac_f32_e32 v95, 0x3f737871, v52
	v_fmac_f32_e32 v107, 0xbf167918, v53
	v_add_f32_e32 v55, v55, v109
	v_fmac_f32_e32 v95, 0x3f167918, v53
	v_fmac_f32_e32 v107, 0x3e9e377a, v55
	v_fmac_f32_e32 v95, 0x3e9e377a, v55
	v_add_f32_e32 v55, v114, v119
	v_fmac_f32_e32 v43, -0.5, v55
	v_mov_b32_e32 v109, v43
	v_fmac_f32_e32 v109, 0x3f737871, v53
	v_fmac_f32_e32 v43, 0xbf737871, v53
	;; [unrolled: 1-line block ×4, first 2 shown]
	v_add_f32_e32 v52, v50, v51
	v_sub_f32_e32 v55, v117, v114
	v_sub_f32_e32 v54, v54, v119
	v_fma_f32 v167, -0.5, v52, v48
	v_add_f32_e32 v54, v55, v54
	v_sub_f32_e32 v53, v57, v61
	v_mov_b32_e32 v140, v167
	v_fmac_f32_e32 v109, 0x3e9e377a, v54
	v_fmac_f32_e32 v43, 0x3e9e377a, v54
	;; [unrolled: 1-line block ×3, first 2 shown]
	v_sub_f32_e32 v55, v58, v60
	v_sub_f32_e32 v52, v56, v50
	;; [unrolled: 1-line block ×3, first 2 shown]
	v_fmac_f32_e32 v167, 0xbf737871, v53
	v_fmac_f32_e32 v140, 0x3f167918, v55
	v_add_f32_e32 v52, v52, v54
	v_fmac_f32_e32 v167, 0xbf167918, v55
	v_fmac_f32_e32 v140, 0x3e9e377a, v52
	;; [unrolled: 1-line block ×3, first 2 shown]
	v_add_f32_e32 v52, v56, v59
	v_fma_f32 v54, -0.5, v52, v48
	v_mov_b32_e32 v52, v54
	v_fmac_f32_e32 v52, 0xbf737871, v55
	v_fmac_f32_e32 v54, 0x3f737871, v55
	v_add_f32_e32 v63, v63, v111
	v_add_f32_e32 v79, v79, v110
	v_fmac_f32_e32 v52, 0x3f167918, v53
	v_sub_f32_e32 v110, v50, v56
	v_sub_f32_e32 v111, v51, v59
	v_fmac_f32_e32 v54, 0xbf167918, v53
	v_add_f32_e32 v53, v58, v60
	v_add_f32_e32 v110, v110, v111
	v_fma_f32 v168, -0.5, v53, v49
	v_fmac_f32_e32 v52, 0x3e9e377a, v110
	v_fmac_f32_e32 v54, 0x3e9e377a, v110
	v_sub_f32_e32 v110, v56, v59
	v_mov_b32_e32 v141, v168
	v_fmac_f32_e32 v141, 0xbf737871, v110
	v_sub_f32_e32 v111, v50, v51
	v_sub_f32_e32 v53, v57, v58
	;; [unrolled: 1-line block ×3, first 2 shown]
	v_fmac_f32_e32 v168, 0x3f737871, v110
	v_fmac_f32_e32 v141, 0xbf167918, v111
	v_add_f32_e32 v53, v53, v55
	v_fmac_f32_e32 v168, 0x3f167918, v111
	v_add_f32_e32 v63, v63, v113
	v_fmac_f32_e32 v141, 0x3e9e377a, v53
	v_fmac_f32_e32 v168, 0x3e9e377a, v53
	v_add_f32_e32 v53, v57, v61
	v_fma_f32 v55, -0.5, v53, v49
	ds_write2_b64 v177, v[62:63], v[66:67] offset1:11
	ds_write2_b64 v177, v[68:69], v[44:45] offset0:22 offset1:33
	ds_write_b64 v177, v[64:65] offset:352
	v_mul_u32_u24_e32 v44, 55, v99
	v_mov_b32_e32 v53, v55
	v_add_lshl_u32 v178, v44, v100, 3
	v_mul_u32_u24_e32 v44, 55, v101
	v_fmac_f32_e32 v53, 0x3f737871, v111
	v_sub_f32_e32 v112, v58, v57
	v_sub_f32_e32 v113, v60, v61
	v_fmac_f32_e32 v55, 0xbf737871, v111
	v_add_lshl_u32 v179, v44, v102, 3
	v_fmac_f32_e32 v53, 0xbf167918, v110
	v_add_f32_e32 v112, v112, v113
	v_fmac_f32_e32 v55, 0x3f167918, v110
	ds_write2_b64 v178, v[70:71], v[74:75] offset1:11
	ds_write2_b64 v178, v[76:77], v[46:47] offset0:22 offset1:33
	ds_write_b64 v178, v[72:73] offset:352
	ds_write2_b64 v179, v[78:79], v[82:83] offset1:11
	ds_write2_b64 v179, v[84:85], v[40:41] offset0:22 offset1:33
	ds_write_b64 v179, v[80:81] offset:352
	v_mul_u32_u24_e32 v40, 55, v103
	v_fmac_f32_e32 v53, 0x3e9e377a, v112
	v_fmac_f32_e32 v55, 0x3e9e377a, v112
	v_add_lshl_u32 v180, v40, v104, 3
	ds_write2_b64 v180, v[86:87], v[106:107] offset1:11
	ds_write2_b64 v180, v[108:109], v[42:43] offset0:22 offset1:33
	ds_write_b64 v180, v[94:95] offset:352
	s_and_saveexec_b64 s[4:5], s[2:3]
	s_cbranch_execz .LBB0_11
; %bb.10:
	v_add_f32_e32 v40, v49, v57
	v_add_f32_e32 v40, v40, v58
	;; [unrolled: 1-line block ×8, first 2 shown]
	v_add_u32_e32 v42, 0x2000, v175
	ds_write2_b64 v42, v[40:41], v[140:141] offset0:76 offset1:87
	ds_write2_b64 v42, v[52:53], v[54:55] offset0:98 offset1:109
	ds_write_b64 v175, v[167:168] offset:9152
.LBB0_11:
	s_or_b64 exec, exec, s[4:5]
	v_mad_u64_u32 v[56:57], s[4:5], v172, 48, s[18:19]
	s_movk_i32 s4, 0x95
	s_waitcnt lgkmcnt(0)
	; wave barrier
	s_waitcnt lgkmcnt(0)
	global_load_dwordx4 v[48:51], v[56:57], off offset:352
	global_load_dwordx4 v[44:47], v[56:57], off offset:368
	;; [unrolled: 1-line block ×3, first 2 shown]
	v_mul_lo_u16_sdwa v56, v88, s4 dst_sel:DWORD dst_unused:UNUSED_PAD src0_sel:BYTE_0 src1_sel:DWORD
	v_lshrrev_b16_e32 v56, 13, v56
	v_mul_lo_u16_e32 v56, 55, v56
	v_sub_u16_e32 v56, v88, v56
	v_and_b32_e32 v95, 0xff, v56
	v_mad_u64_u32 v[68:69], s[4:5], v95, 48, s[18:19]
	global_load_dwordx4 v[64:67], v[68:69], off offset:352
	global_load_dwordx4 v[60:63], v[68:69], off offset:368
	;; [unrolled: 1-line block ×3, first 2 shown]
	ds_read2_b64 v[68:71], v171 offset1:55
	ds_read2_b64 v[72:75], v171 offset0:110 offset1:165
	v_add_u32_e32 v121, 0x800, v171
	v_add_u32_e32 v117, 0x1000, v171
	;; [unrolled: 1-line block ×5, first 2 shown]
	ds_read_b64 v[105:106], v171 offset:8800
	ds_read2_b64 v[76:79], v121 offset0:74 offset1:129
	ds_read2_b64 v[80:83], v121 offset0:184 offset1:239
	;; [unrolled: 1-line block ×8, first 2 shown]
	s_mov_b32 s4, 0x3f5ff5aa
	s_mov_b32 s5, 0x3f3bfb3b
	;; [unrolled: 1-line block ×4, first 2 shown]
	s_waitcnt lgkmcnt(0)
	; wave barrier
	s_waitcnt lgkmcnt(0)
	v_lshlrev_b32_e32 v94, 4, v172
	s_waitcnt vmcnt(5)
	v_mul_f32_e32 v138, v79, v51
	v_mul_f32_e32 v137, v109, v49
	s_waitcnt vmcnt(3)
	v_mul_f32_e32 v133, v99, v41
	v_mul_f32_e32 v132, v100, v41
	;; [unrolled: 1-line block ×3, first 2 shown]
	v_fmac_f32_e32 v133, v100, v40
	v_fma_f32 v100, v78, v50, -v138
	v_mul_f32_e32 v113, v74, v49
	v_mul_f32_e32 v114, v77, v51
	;; [unrolled: 1-line block ×3, first 2 shown]
	s_waitcnt vmcnt(2)
	v_mul_f32_e32 v78, v112, v65
	v_mul_f32_e32 v136, v110, v49
	v_fmac_f32_e32 v137, v110, v48
	v_fma_f32 v110, v111, v64, -v78
	s_waitcnt vmcnt(1)
	v_mul_f32_e32 v78, v98, v63
	v_mul_f32_e32 v107, v75, v49
	;; [unrolled: 1-line block ×6, first 2 shown]
	v_fmac_f32_e32 v113, v75, v48
	v_fma_f32 v75, v76, v50, -v114
	v_fma_f32 v76, v82, v44, -v118
	v_fma_f32 v118, v97, v62, -v78
	s_waitcnt vmcnt(0)
	v_mul_f32_e32 v78, v129, v57
	v_mul_f32_e32 v130, v85, v47
	;; [unrolled: 1-line block ×4, first 2 shown]
	v_fma_f32 v74, v74, v48, -v107
	v_fmac_f32_e32 v119, v83, v44
	v_fma_f32 v82, v99, v40, -v132
	v_fma_f32 v83, v101, v42, -v134
	;; [unrolled: 1-line block ×3, first 2 shown]
	v_fmac_f32_e32 v170, v123, v44
	v_mul_f32_e32 v109, v80, v67
	v_mul_f32_e32 v114, v124, v61
	v_fma_f32 v123, v128, v56, -v78
	v_mul_f32_e32 v78, v106, v59
	v_mul_f32_e32 v131, v84, v47
	v_fmac_f32_e32 v115, v77, v50
	v_fma_f32 v77, v84, v46, -v130
	v_fmac_f32_e32 v135, v102, v42
	v_fmac_f32_e32 v139, v79, v50
	v_mul_f32_e32 v107, v111, v65
	v_mul_f32_e32 v79, v81, v67
	;; [unrolled: 1-line block ×3, first 2 shown]
	v_fmac_f32_e32 v109, v81, v66
	v_fmac_f32_e32 v114, v125, v60
	v_fma_f32 v125, v105, v58, -v78
	v_add_f32_e32 v78, v74, v83
	v_add_f32_e32 v81, v75, v82
	v_mul_f32_e32 v184, v104, v43
	v_fmac_f32_e32 v131, v85, v46
	v_fma_f32 v101, v122, v44, -v169
	v_fmac_f32_e32 v107, v112, v64
	v_fma_f32 v111, v80, v66, -v79
	v_fma_f32 v112, v124, v60, -v84
	v_mul_f32_e32 v122, v97, v63
	v_add_f32_e32 v79, v113, v135
	v_sub_f32_e32 v74, v74, v83
	v_add_f32_e32 v83, v115, v133
	v_add_f32_e32 v84, v76, v77
	;; [unrolled: 1-line block ×3, first 2 shown]
	v_mul_f32_e32 v185, v103, v43
	v_fma_f32 v102, v103, v42, -v184
	v_fmac_f32_e32 v122, v98, v62
	v_add_f32_e32 v85, v119, v131
	v_add_f32_e32 v98, v83, v79
	v_sub_f32_e32 v103, v81, v78
	v_sub_f32_e32 v78, v78, v84
	v_sub_f32_e32 v81, v84, v81
	v_add_f32_e32 v84, v84, v97
	v_mul_f32_e32 v181, v86, v47
	v_mul_f32_e32 v182, v127, v41
	v_fmac_f32_e32 v185, v104, v42
	v_sub_f32_e32 v75, v75, v82
	v_sub_f32_e32 v76, v77, v76
	;; [unrolled: 1-line block ×5, first 2 shown]
	v_add_f32_e32 v85, v85, v98
	v_add_f32_e32 v68, v68, v84
	v_mul_f32_e32 v176, v87, v47
	v_mul_f32_e32 v183, v126, v41
	v_fmac_f32_e32 v181, v87, v46
	v_fma_f32 v87, v126, v40, -v182
	v_mul_f32_e32 v126, v105, v59
	v_sub_f32_e32 v80, v113, v135
	v_sub_f32_e32 v82, v115, v133
	;; [unrolled: 1-line block ×3, first 2 shown]
	v_add_f32_e32 v105, v76, v75
	v_sub_f32_e32 v113, v76, v75
	v_sub_f32_e32 v75, v75, v74
	v_add_f32_e32 v69, v69, v85
	v_mov_b32_e32 v119, v68
	v_fmac_f32_e32 v126, v106, v58
	v_add_f32_e32 v106, v77, v82
	v_sub_f32_e32 v115, v77, v82
	v_sub_f32_e32 v76, v74, v76
	;; [unrolled: 1-line block ×3, first 2 shown]
	v_add_f32_e32 v74, v105, v74
	v_mul_f32_e32 v78, 0x3f4a47b2, v78
	v_mul_f32_e32 v79, 0x3f4a47b2, v79
	;; [unrolled: 1-line block ×6, first 2 shown]
	v_fmac_f32_e32 v119, 0xbf955555, v84
	v_mov_b32_e32 v84, v69
	v_sub_f32_e32 v77, v80, v77
	v_add_f32_e32 v80, v106, v80
	v_mul_f32_e32 v106, 0xbf08b237, v115
	v_mul_f32_e32 v115, 0x3f5ff5aa, v82
	v_fmac_f32_e32 v84, 0xbf955555, v85
	v_fma_f32 v85, v103, s5, -v97
	v_fma_f32 v97, v104, s5, -v98
	;; [unrolled: 1-line block ×3, first 2 shown]
	v_fmac_f32_e32 v78, 0x3d64c772, v81
	v_fma_f32 v81, v104, s8, -v79
	v_fmac_f32_e32 v79, 0x3d64c772, v83
	v_fma_f32 v83, v75, s4, -v105
	v_fma_f32 v103, v76, s9, -v113
	v_fmac_f32_e32 v105, 0x3eae86e6, v76
	v_fma_f32 v82, v82, s4, -v106
	v_fmac_f32_e32 v106, 0x3eae86e6, v77
	v_fma_f32 v104, v77, s9, -v115
	v_add_f32_e32 v115, v79, v84
	v_add_f32_e32 v97, v97, v84
	;; [unrolled: 1-line block ×3, first 2 shown]
	v_fmac_f32_e32 v83, 0x3ee1c552, v74
	v_fmac_f32_e32 v103, 0x3ee1c552, v74
	v_fma_f32 v86, v86, v46, -v176
	v_fmac_f32_e32 v183, v127, v40
	v_add_f32_e32 v113, v78, v119
	v_add_f32_e32 v85, v85, v119
	;; [unrolled: 1-line block ×3, first 2 shown]
	v_fmac_f32_e32 v105, 0x3ee1c552, v74
	v_fmac_f32_e32 v106, 0x3ee1c552, v80
	;; [unrolled: 1-line block ×4, first 2 shown]
	v_sub_f32_e32 v77, v84, v103
	v_add_f32_e32 v79, v83, v97
	v_sub_f32_e32 v81, v97, v83
	v_add_f32_e32 v83, v103, v84
	v_add_f32_e32 v97, v99, v102
	;; [unrolled: 1-line block ×4, first 2 shown]
	v_sub_f32_e32 v75, v115, v105
	v_add_f32_e32 v76, v104, v98
	v_sub_f32_e32 v78, v85, v82
	v_add_f32_e32 v80, v82, v85
	v_sub_f32_e32 v82, v98, v104
	v_sub_f32_e32 v84, v113, v106
	v_add_f32_e32 v85, v105, v115
	v_add_f32_e32 v98, v137, v185
	;; [unrolled: 1-line block ×7, first 2 shown]
	v_sub_f32_e32 v119, v103, v97
	v_sub_f32_e32 v97, v97, v105
	;; [unrolled: 1-line block ×3, first 2 shown]
	v_add_f32_e32 v105, v105, v113
	v_mul_f32_e32 v124, v128, v57
	v_sub_f32_e32 v99, v99, v102
	v_sub_f32_e32 v102, v137, v185
	;; [unrolled: 1-line block ×9, first 2 shown]
	v_add_f32_e32 v106, v106, v115
	v_add_f32_e32 v70, v70, v105
	v_fmac_f32_e32 v124, v129, v56
	v_add_f32_e32 v128, v86, v87
	v_add_f32_e32 v129, v101, v100
	v_sub_f32_e32 v130, v86, v87
	v_sub_f32_e32 v131, v101, v100
	;; [unrolled: 1-line block ×4, first 2 shown]
	v_add_f32_e32 v71, v71, v106
	v_mov_b32_e32 v132, v70
	v_sub_f32_e32 v86, v99, v86
	v_sub_f32_e32 v101, v102, v101
	v_add_f32_e32 v99, v128, v99
	v_add_f32_e32 v102, v129, v102
	v_mul_f32_e32 v97, 0x3f4a47b2, v97
	v_mul_f32_e32 v98, 0x3f4a47b2, v98
	;; [unrolled: 1-line block ×8, first 2 shown]
	v_fmac_f32_e32 v132, 0xbf955555, v105
	v_mov_b32_e32 v105, v71
	v_fmac_f32_e32 v105, 0xbf955555, v106
	v_fma_f32 v106, v119, s5, -v113
	v_fma_f32 v113, v127, s5, -v115
	;; [unrolled: 1-line block ×3, first 2 shown]
	v_fmac_f32_e32 v97, 0x3d64c772, v103
	v_fma_f32 v103, v127, s8, -v98
	v_fma_f32 v119, v100, s4, -v129
	;; [unrolled: 1-line block ×4, first 2 shown]
	v_fmac_f32_e32 v98, 0x3d64c772, v104
	v_fma_f32 v104, v87, s4, -v128
	v_fmac_f32_e32 v128, 0x3eae86e6, v86
	v_fmac_f32_e32 v129, 0x3eae86e6, v101
	v_add_f32_e32 v101, v106, v132
	v_add_f32_e32 v106, v113, v105
	;; [unrolled: 1-line block ×3, first 2 shown]
	v_fmac_f32_e32 v119, 0x3ee1c552, v102
	v_fmac_f32_e32 v130, 0x3ee1c552, v102
	v_add_f32_e32 v131, v97, v132
	v_add_f32_e32 v133, v98, v105
	;; [unrolled: 1-line block ×3, first 2 shown]
	v_fmac_f32_e32 v128, 0x3ee1c552, v99
	v_fmac_f32_e32 v104, 0x3ee1c552, v99
	;; [unrolled: 1-line block ×3, first 2 shown]
	v_add_f32_e32 v97, v130, v113
	v_sub_f32_e32 v99, v101, v119
	v_add_f32_e32 v101, v119, v101
	v_sub_f32_e32 v103, v113, v130
	v_add_f32_e32 v113, v110, v125
	v_add_f32_e32 v119, v111, v123
	;; [unrolled: 1-line block ×3, first 2 shown]
	v_sub_f32_e32 v110, v110, v125
	v_add_f32_e32 v125, v109, v124
	v_sub_f32_e32 v111, v111, v123
	v_add_f32_e32 v123, v112, v118
	v_sub_f32_e32 v112, v118, v112
	v_add_f32_e32 v118, v119, v113
	v_sub_f32_e32 v109, v109, v124
	v_add_f32_e32 v124, v114, v122
	v_sub_f32_e32 v114, v122, v114
	v_add_f32_e32 v122, v125, v115
	v_add_f32_e32 v118, v123, v118
	v_fmac_f32_e32 v129, 0x3ee1c552, v102
	v_add_f32_e32 v122, v124, v122
	v_add_f32_e32 v72, v72, v118
	v_add_f32_e32 v86, v129, v131
	v_sub_f32_e32 v87, v133, v128
	v_sub_f32_e32 v98, v105, v127
	v_add_f32_e32 v100, v104, v106
	v_sub_f32_e32 v102, v106, v104
	v_add_f32_e32 v104, v127, v105
	;; [unrolled: 2-line block ×3, first 2 shown]
	v_sub_f32_e32 v107, v107, v126
	v_sub_f32_e32 v126, v119, v113
	;; [unrolled: 1-line block ×7, first 2 shown]
	v_add_f32_e32 v128, v112, v111
	v_add_f32_e32 v129, v114, v109
	v_sub_f32_e32 v130, v112, v111
	v_sub_f32_e32 v131, v114, v109
	v_add_f32_e32 v73, v73, v122
	v_mov_b32_e32 v132, v72
	v_sub_f32_e32 v112, v110, v112
	v_sub_f32_e32 v114, v107, v114
	;; [unrolled: 1-line block ×4, first 2 shown]
	v_add_f32_e32 v110, v128, v110
	v_add_f32_e32 v107, v129, v107
	v_mul_f32_e32 v113, 0x3f4a47b2, v113
	v_mul_f32_e32 v115, 0x3f4a47b2, v115
	;; [unrolled: 1-line block ×6, first 2 shown]
	v_fmac_f32_e32 v132, 0xbf955555, v118
	v_mov_b32_e32 v118, v73
	v_mul_f32_e32 v130, 0x3f5ff5aa, v111
	v_mul_f32_e32 v131, 0x3f5ff5aa, v109
	v_fmac_f32_e32 v118, 0xbf955555, v122
	v_fma_f32 v122, v126, s5, -v123
	v_fma_f32 v123, v127, s5, -v124
	;; [unrolled: 1-line block ×3, first 2 shown]
	v_fmac_f32_e32 v113, 0x3d64c772, v119
	v_fma_f32 v119, v127, s8, -v115
	v_fmac_f32_e32 v115, 0x3d64c772, v125
	v_fma_f32 v125, v111, s4, -v128
	;; [unrolled: 2-line block ×4, first 2 shown]
	v_fma_f32 v130, v114, s9, -v131
	v_add_f32_e32 v131, v113, v132
	v_add_f32_e32 v115, v115, v118
	v_fmac_f32_e32 v128, 0x3ee1c552, v110
	v_fmac_f32_e32 v129, 0x3ee1c552, v107
	v_lshlrev_b32_e32 v176, 3, v95
	v_add_f32_e32 v122, v122, v132
	v_add_f32_e32 v123, v123, v118
	;; [unrolled: 1-line block ×4, first 2 shown]
	v_fmac_f32_e32 v125, 0x3ee1c552, v110
	v_fmac_f32_e32 v126, 0x3ee1c552, v107
	;; [unrolled: 1-line block ×4, first 2 shown]
	v_add_f32_e32 v109, v129, v131
	v_sub_f32_e32 v110, v115, v128
	ds_write2_b64 v171, v[68:69], v[74:75] offset1:55
	ds_write2_b64 v171, v[76:77], v[78:79] offset0:110 offset1:165
	ds_write2_b64 v120, v[80:81], v[82:83] offset0:92 offset1:147
	;; [unrolled: 1-line block ×6, first 2 shown]
	v_add_u32_e32 v68, 0x1800, v176
	v_add_f32_e32 v111, v130, v124
	v_sub_f32_e32 v112, v132, v127
	v_sub_f32_e32 v113, v122, v126
	v_add_f32_e32 v114, v125, v123
	v_add_f32_e32 v118, v126, v122
	v_sub_f32_e32 v119, v123, v125
	v_sub_f32_e32 v122, v124, v130
	v_add_f32_e32 v123, v127, v132
	ds_write2_b64 v68, v[72:73], v[109:110] offset0:2 offset1:57
	ds_write2_b64 v68, v[111:112], v[113:114] offset0:112 offset1:167
	v_add_u32_e32 v68, 0x1c00, v176
	v_lshlrev_b64 v[76:77], 4, v[88:89]
	v_sub_f32_e32 v124, v131, v129
	v_add_f32_e32 v125, v128, v115
	ds_write2_b64 v68, v[118:119], v[122:123] offset0:94 offset1:149
	ds_write_b64 v176, v[124:125] offset:8800
	s_waitcnt lgkmcnt(0)
	; wave barrier
	s_waitcnt lgkmcnt(0)
	global_load_dwordx4 v[68:71], v94, s[18:19] offset:2992
	v_lshlrev_b32_e32 v72, 4, v96
	global_load_dwordx4 v[72:75], v72, s[18:19] offset:2992
	v_mov_b32_e32 v86, s19
	v_add_co_u32_e32 v76, vcc, s18, v76
	v_lshlrev_b64 v[80:81], 4, v[90:91]
	v_addc_co_u32_e32 v77, vcc, v86, v77, vcc
	global_load_dwordx4 v[76:79], v[76:77], off offset:2992
	v_add_co_u32_e32 v80, vcc, s18, v80
	v_lshlrev_b64 v[84:85], 4, v[92:93]
	v_addc_co_u32_e32 v81, vcc, v86, v81, vcc
	global_load_dwordx4 v[80:83], v[80:81], off offset:2992
	v_add_co_u32_e32 v84, vcc, s18, v84
	v_addc_co_u32_e32 v85, vcc, v86, v85, vcc
	global_load_dwordx4 v[84:87], v[84:85], off offset:2992
	v_add_u32_e32 v88, 0x1130, v94
	global_load_dwordx4 v[88:91], v88, s[18:19] offset:2992
	v_add_u32_e32 v92, 0x14a0, v94
	global_load_dwordx4 v[92:95], v92, s[18:19] offset:2992
	v_mov_b32_e32 v96, s17
	v_addc_co_u32_e64 v189, vcc, 0, v96, s[6:7]
	ds_read2_b64 v[122:125], v171 offset1:55
	ds_read2_b64 v[100:103], v121 offset0:74 offset1:129
	ds_read2_b64 v[109:112], v116 offset0:2 offset1:57
	;; [unrolled: 1-line block ×9, first 2 shown]
	ds_read_b64 v[113:114], v171 offset:8800
	s_movk_i32 s4, 0x2000
	s_movk_i32 s5, 0x2418
	;; [unrolled: 1-line block ×3, first 2 shown]
	s_waitcnt vmcnt(6) lgkmcnt(9)
	v_mul_f32_e32 v108, v103, v69
	v_fma_f32 v115, v102, v68, -v108
	v_mul_f32_e32 v102, v102, v69
	s_waitcnt lgkmcnt(8)
	v_mul_f32_e32 v118, v109, v71
	s_waitcnt vmcnt(5) lgkmcnt(7)
	v_mul_f32_e32 v108, v127, v73
	v_fmac_f32_e32 v102, v103, v68
	v_mul_f32_e32 v103, v110, v71
	v_fmac_f32_e32 v118, v110, v70
	v_fma_f32 v110, v126, v72, -v108
	v_mul_f32_e32 v108, v112, v75
	v_fma_f32 v138, v111, v74, -v108
	v_mul_f32_e32 v111, v111, v75
	s_waitcnt vmcnt(4)
	v_mul_f32_e32 v108, v129, v77
	v_fmac_f32_e32 v111, v112, v74
	v_fma_f32 v112, v128, v76, -v108
	s_waitcnt lgkmcnt(5)
	v_mul_f32_e32 v108, v131, v79
	v_fma_f32 v169, v130, v78, -v108
	s_waitcnt vmcnt(3) lgkmcnt(4)
	v_mul_f32_e32 v108, v135, v81
	v_fma_f32 v190, v134, v80, -v108
	v_mul_f32_e32 v108, v133, v83
	v_fma_f32 v192, v132, v82, -v108
	s_waitcnt vmcnt(2)
	v_mul_f32_e32 v108, v137, v85
	v_fma_f32 v194, v136, v84, -v108
	s_waitcnt lgkmcnt(2)
	v_mul_f32_e32 v108, v182, v87
	v_fma_f32 v196, v181, v86, -v108
	v_mul_f32_e32 v181, v181, v87
	s_waitcnt vmcnt(1) lgkmcnt(1)
	v_mul_f32_e32 v108, v186, v89
	v_fmac_f32_e32 v181, v182, v86
	v_fma_f32 v182, v185, v88, -v108
	v_mul_f32_e32 v185, v185, v89
	v_mul_f32_e32 v108, v184, v91
	v_fma_f32 v103, v109, v70, -v103
	v_fmac_f32_e32 v185, v186, v88
	v_fma_f32 v186, v183, v90, -v108
	v_mul_f32_e32 v183, v183, v91
	s_waitcnt vmcnt(0)
	v_mul_f32_e32 v108, v188, v93
	v_fmac_f32_e32 v183, v184, v90
	v_fma_f32 v184, v187, v92, -v108
	v_mul_f32_e32 v187, v187, v93
	s_waitcnt lgkmcnt(0)
	v_mul_f32_e32 v108, v114, v95
	v_add_f32_e32 v109, v115, v103
	v_fmac_f32_e32 v187, v188, v92
	v_fma_f32 v188, v113, v94, -v108
	v_add_f32_e32 v108, v122, v115
	v_fma_f32 v122, -0.5, v109, v122
	v_mul_f32_e32 v119, v126, v73
	v_sub_f32_e32 v109, v102, v118
	v_mov_b32_e32 v126, v122
	v_fmac_f32_e32 v126, 0x3f5db3d7, v109
	v_fmac_f32_e32 v122, 0xbf5db3d7, v109
	v_add_f32_e32 v109, v123, v102
	v_add_f32_e32 v102, v102, v118
	v_fma_f32 v123, -0.5, v102, v123
	v_fmac_f32_e32 v119, v127, v72
	v_sub_f32_e32 v102, v115, v103
	v_mov_b32_e32 v127, v123
	v_fmac_f32_e32 v127, 0xbf5db3d7, v102
	v_fmac_f32_e32 v123, 0x3f5db3d7, v102
	v_add_f32_e32 v102, v124, v110
	v_mul_f32_e32 v139, v128, v77
	v_add_f32_e32 v128, v102, v138
	v_add_f32_e32 v102, v110, v138
	v_fma_f32 v124, -0.5, v102, v124
	v_mul_f32_e32 v170, v130, v79
	v_sub_f32_e32 v102, v119, v111
	v_mov_b32_e32 v130, v124
	v_fmac_f32_e32 v130, 0x3f5db3d7, v102
	v_fmac_f32_e32 v124, 0xbf5db3d7, v102
	v_add_f32_e32 v102, v125, v119
	v_fmac_f32_e32 v139, v129, v76
	v_add_f32_e32 v129, v102, v111
	v_add_f32_e32 v102, v119, v111
	v_fmac_f32_e32 v125, -0.5, v102
	v_fmac_f32_e32 v170, v131, v78
	v_sub_f32_e32 v102, v110, v138
	v_mov_b32_e32 v131, v125
	v_fmac_f32_e32 v131, 0xbf5db3d7, v102
	v_fmac_f32_e32 v125, 0x3f5db3d7, v102
	v_add_f32_e32 v102, v96, v112
	v_mul_f32_e32 v193, v132, v83
	v_add_f32_e32 v132, v102, v169
	v_add_f32_e32 v102, v112, v169
	v_mul_f32_e32 v191, v134, v81
	v_fma_f32 v134, -0.5, v102, v96
	v_mul_f32_e32 v195, v136, v85
	v_sub_f32_e32 v96, v139, v170
	v_mov_b32_e32 v136, v134
	v_fmac_f32_e32 v136, 0x3f5db3d7, v96
	v_fmac_f32_e32 v134, 0xbf5db3d7, v96
	v_add_f32_e32 v96, v97, v139
	v_fmac_f32_e32 v193, v133, v82
	v_add_f32_e32 v133, v96, v170
	v_add_f32_e32 v96, v139, v170
	v_fmac_f32_e32 v191, v135, v80
	v_fma_f32 v135, -0.5, v96, v97
	v_fmac_f32_e32 v195, v137, v84
	v_sub_f32_e32 v96, v112, v169
	v_mov_b32_e32 v137, v135
	v_fmac_f32_e32 v137, 0xbf5db3d7, v96
	v_fmac_f32_e32 v135, 0x3f5db3d7, v96
	v_add_f32_e32 v96, v98, v190
	v_add_f32_e32 v138, v96, v192
	;; [unrolled: 1-line block ×3, first 2 shown]
	v_fma_f32 v98, -0.5, v96, v98
	v_sub_f32_e32 v96, v191, v193
	v_mov_b32_e32 v169, v98
	v_fmac_f32_e32 v169, 0x3f5db3d7, v96
	v_fmac_f32_e32 v98, 0xbf5db3d7, v96
	v_add_f32_e32 v96, v99, v191
	v_add_f32_e32 v139, v96, v193
	v_add_f32_e32 v96, v191, v193
	v_fmac_f32_e32 v99, -0.5, v96
	v_sub_f32_e32 v96, v190, v192
	v_mov_b32_e32 v170, v99
	v_fmac_f32_e32 v170, 0xbf5db3d7, v96
	v_fmac_f32_e32 v99, 0x3f5db3d7, v96
	v_add_f32_e32 v96, v104, v194
	v_add_f32_e32 v110, v96, v196
	;; [unrolled: 1-line block ×3, first 2 shown]
	v_fma_f32 v104, -0.5, v96, v104
	v_sub_f32_e32 v96, v195, v181
	v_mov_b32_e32 v102, v104
	v_fmac_f32_e32 v102, 0x3f5db3d7, v96
	v_fmac_f32_e32 v104, 0xbf5db3d7, v96
	v_add_f32_e32 v96, v105, v195
	v_add_f32_e32 v111, v96, v181
	;; [unrolled: 1-line block ×3, first 2 shown]
	v_fma_f32 v105, -0.5, v96, v105
	v_add_f32_e32 v108, v108, v103
	v_sub_f32_e32 v96, v194, v196
	v_mov_b32_e32 v103, v105
	v_fmac_f32_e32 v103, 0xbf5db3d7, v96
	v_fmac_f32_e32 v105, 0x3f5db3d7, v96
	v_add_f32_e32 v96, v106, v182
	v_add_f32_e32 v112, v96, v186
	;; [unrolled: 1-line block ×3, first 2 shown]
	v_mul_f32_e32 v197, v113, v95
	v_fma_f32 v106, -0.5, v96, v106
	v_fmac_f32_e32 v197, v114, v94
	v_sub_f32_e32 v96, v185, v183
	v_mov_b32_e32 v114, v106
	v_fmac_f32_e32 v114, 0x3f5db3d7, v96
	v_fmac_f32_e32 v106, 0xbf5db3d7, v96
	v_add_f32_e32 v96, v107, v185
	v_add_f32_e32 v113, v96, v183
	;; [unrolled: 1-line block ×3, first 2 shown]
	v_fmac_f32_e32 v107, -0.5, v96
	v_sub_f32_e32 v96, v182, v186
	v_mov_b32_e32 v115, v107
	v_fmac_f32_e32 v115, 0xbf5db3d7, v96
	v_fmac_f32_e32 v107, 0x3f5db3d7, v96
	v_add_f32_e32 v96, v100, v184
	v_add_f32_e32 v109, v109, v118
	;; [unrolled: 1-line block ×4, first 2 shown]
	v_fma_f32 v100, -0.5, v96, v100
	v_sub_f32_e32 v97, v187, v197
	v_mov_b32_e32 v96, v100
	v_fmac_f32_e32 v96, 0x3f5db3d7, v97
	v_fmac_f32_e32 v100, 0xbf5db3d7, v97
	v_add_f32_e32 v97, v101, v187
	v_add_f32_e32 v119, v97, v197
	;; [unrolled: 1-line block ×3, first 2 shown]
	v_fmac_f32_e32 v101, -0.5, v97
	v_sub_f32_e32 v181, v184, v188
	v_mov_b32_e32 v97, v101
	v_fmac_f32_e32 v101, 0x3f5db3d7, v181
	ds_write2_b64 v171, v[108:109], v[128:129] offset1:55
	ds_write2_b64 v121, v[126:127], v[130:131] offset0:129 offset1:184
	ds_write2_b64 v116, v[122:123], v[124:125] offset0:2 offset1:57
	;; [unrolled: 1-line block ×3, first 2 shown]
	v_add_u32_e32 v122, 0xc00, v171
	v_add_u32_e32 v108, 0x2000, v171
	v_fmac_f32_e32 v97, 0xbf5db3d7, v181
	ds_write2_b64 v122, v[136:137], v[169:170] offset0:111 offset1:166
	ds_write2_b64 v116, v[134:135], v[98:99] offset0:112 offset1:167
	ds_write_b64 v171, v[104:105] offset:7920
	ds_write2_b64 v120, v[110:111], v[112:113] offset0:92 offset1:147
	ds_write2_b64 v117, v[102:103], v[114:115] offset0:93 offset1:148
	ds_write_b64 v171, v[118:119] offset:2640
	ds_write_b64 v171, v[96:97] offset:5720
	ds_write2_b64 v108, v[106:107], v[100:101] offset0:21 offset1:76
	v_add_co_u32_e32 v108, vcc, s4, v142
	v_addc_co_u32_e32 v109, vcc, 0, v189, vcc
	s_waitcnt lgkmcnt(0)
	; wave barrier
	s_waitcnt lgkmcnt(0)
	global_load_dwordx2 v[127:128], v[108:109], off offset:1048
	v_add_co_u32_e32 v108, vcc, s5, v142
	v_addc_co_u32_e32 v109, vcc, 0, v189, vcc
	global_load_dwordx2 v[129:130], v[108:109], off offset:840
	global_load_dwordx2 v[131:132], v[108:109], off offset:1680
	;; [unrolled: 1-line block ×4, first 2 shown]
	s_movk_i32 s4, 0x3000
	v_add_co_u32_e32 v123, vcc, s4, v142
	v_addc_co_u32_e32 v124, vcc, 0, v189, vcc
	global_load_dwordx2 v[137:138], v[123:124], off offset:1152
	global_load_dwordx2 v[169:170], v[123:124], off offset:1992
	global_load_dwordx2 v[181:182], v[123:124], off offset:2832
	global_load_dwordx2 v[183:184], v[123:124], off offset:3672
	s_movk_i32 s4, 0x4000
	v_add_co_u32_e32 v123, vcc, s4, v142
	v_addc_co_u32_e32 v124, vcc, 0, v189, vcc
	global_load_dwordx2 v[185:186], v[123:124], off offset:416
	global_load_dwordx2 v[187:188], v[123:124], off offset:1256
	ds_read2_b64 v[123:126], v171 offset1:105
	s_waitcnt vmcnt(10) lgkmcnt(0)
	v_mul_f32_e32 v139, v124, v128
	v_mul_f32_e32 v190, v123, v128
	v_fma_f32 v189, v123, v127, -v139
	v_fmac_f32_e32 v190, v124, v127
	s_waitcnt vmcnt(9)
	v_mul_f32_e32 v123, v126, v130
	v_mul_f32_e32 v124, v125, v130
	v_fma_f32 v123, v125, v129, -v123
	v_fmac_f32_e32 v124, v126, v129
	ds_write2_b64 v171, v[189:190], v[123:124] offset1:105
	ds_read2_b64 v[123:126], v120 offset0:82 offset1:187
	s_waitcnt vmcnt(8) lgkmcnt(0)
	v_mul_f32_e32 v127, v124, v132
	v_fma_f32 v189, v123, v131, -v127
	ds_read2_b64 v[127:130], v122 offset0:36 offset1:141
	v_mul_f32_e32 v190, v123, v132
	v_fmac_f32_e32 v190, v124, v131
	s_waitcnt vmcnt(7)
	v_mul_f32_e32 v123, v126, v134
	v_mul_f32_e32 v124, v125, v134
	v_fma_f32 v123, v125, v133, -v123
	v_fmac_f32_e32 v124, v126, v133
	ds_write2_b64 v120, v[189:190], v[123:124] offset0:82 offset1:187
	s_waitcnt vmcnt(6) lgkmcnt(1)
	v_mul_f32_e32 v123, v128, v136
	v_fma_f32 v131, v127, v135, -v123
	ds_read2_b64 v[123:126], v117 offset0:118 offset1:223
	v_mul_f32_e32 v132, v127, v136
	v_fmac_f32_e32 v132, v128, v135
	s_waitcnt vmcnt(5)
	v_mul_f32_e32 v127, v130, v138
	v_mul_f32_e32 v128, v129, v138
	v_fma_f32 v127, v129, v137, -v127
	v_fmac_f32_e32 v128, v130, v137
	ds_write2_b64 v122, v[131:132], v[127:128] offset0:36 offset1:141
	s_waitcnt vmcnt(4) lgkmcnt(1)
	v_mul_f32_e32 v127, v124, v170
	v_fma_f32 v131, v123, v169, -v127
	ds_read2_b64 v[127:130], v116 offset0:72 offset1:177
	v_mul_f32_e32 v132, v123, v170
	v_fmac_f32_e32 v132, v124, v169
	s_waitcnt vmcnt(3)
	v_mul_f32_e32 v123, v126, v182
	v_mul_f32_e32 v124, v125, v182
	v_fma_f32 v123, v125, v181, -v123
	v_fmac_f32_e32 v124, v126, v181
	ds_read_b64 v[125:126], v171 offset:8400
	ds_write2_b64 v117, v[131:132], v[123:124] offset0:118 offset1:223
	s_waitcnt vmcnt(2) lgkmcnt(2)
	v_mul_f32_e32 v123, v128, v184
	v_mul_f32_e32 v124, v127, v184
	v_fma_f32 v123, v127, v183, -v123
	v_fmac_f32_e32 v124, v128, v183
	s_waitcnt vmcnt(1)
	v_mul_f32_e32 v127, v130, v186
	v_mul_f32_e32 v128, v129, v186
	v_fma_f32 v127, v129, v185, -v127
	v_fmac_f32_e32 v128, v130, v185
	ds_write2_b64 v116, v[123:124], v[127:128] offset0:72 offset1:177
	s_waitcnt vmcnt(0) lgkmcnt(2)
	v_mul_f32_e32 v123, v126, v188
	v_mul_f32_e32 v124, v125, v188
	v_fma_f32 v123, v125, v187, -v123
	v_fmac_f32_e32 v124, v126, v187
	ds_write_b64 v171, v[123:124] offset:8400
	s_and_saveexec_b64 s[4:5], s[0:1]
	s_cbranch_execz .LBB0_13
; %bb.12:
	global_load_dwordx2 v[127:128], v[108:109], off offset:440
	global_load_dwordx2 v[129:130], v[108:109], off offset:1280
	;; [unrolled: 1-line block ×5, first 2 shown]
	v_add_co_u32_e32 v123, vcc, s6, v108
	v_addc_co_u32_e32 v124, vcc, 0, v109, vcc
	v_add_co_u32_e32 v108, vcc, 0x2000, v108
	v_addc_co_u32_e32 v109, vcc, 0, v109, vcc
	global_load_dwordx2 v[185:186], v[123:124], off offset:544
	global_load_dwordx2 v[187:188], v[123:124], off offset:1384
	;; [unrolled: 1-line block ×5, first 2 shown]
	ds_read2_b64 v[123:126], v171 offset0:55 offset1:160
	global_load_dwordx2 v[108:109], v[108:109], off offset:648
	v_add_u32_e32 v199, 0x1400, v171
	s_waitcnt vmcnt(10) lgkmcnt(0)
	v_mul_f32_e32 v132, v124, v128
	v_mul_f32_e32 v131, v123, v128
	s_waitcnt vmcnt(9)
	v_mul_f32_e32 v133, v126, v130
	v_mul_f32_e32 v128, v125, v130
	v_fma_f32 v130, v123, v127, -v132
	v_fmac_f32_e32 v131, v124, v127
	v_fma_f32 v127, v125, v129, -v133
	v_fmac_f32_e32 v128, v126, v129
	ds_write2_b64 v171, v[130:131], v[127:128] offset0:55 offset1:160
	ds_read2_b64 v[123:126], v121 offset0:9 offset1:114
	ds_read2_b64 v[127:130], v122 offset0:91 offset1:196
	;; [unrolled: 1-line block ×4, first 2 shown]
	ds_read_b64 v[195:196], v171 offset:8840
	s_waitcnt vmcnt(8) lgkmcnt(4)
	v_mul_f32_e32 v197, v124, v170
	v_mul_f32_e32 v198, v123, v170
	s_waitcnt vmcnt(7)
	v_mul_f32_e32 v200, v126, v182
	v_mul_f32_e32 v170, v125, v182
	s_waitcnt vmcnt(6) lgkmcnt(3)
	v_mul_f32_e32 v201, v128, v184
	v_mul_f32_e32 v182, v127, v184
	s_waitcnt vmcnt(5)
	v_mul_f32_e32 v202, v130, v186
	v_mul_f32_e32 v184, v129, v186
	;; [unrolled: 6-line block ×4, first 2 shown]
	s_waitcnt vmcnt(0) lgkmcnt(0)
	v_mul_f32_e32 v194, v196, v109
	v_mul_f32_e32 v139, v195, v109
	v_fma_f32 v197, v123, v169, -v197
	v_fmac_f32_e32 v198, v124, v169
	v_fma_f32 v169, v125, v181, -v200
	v_fmac_f32_e32 v170, v126, v181
	;; [unrolled: 2-line block ×9, first 2 shown]
	ds_write2_b64 v121, v[197:198], v[169:170] offset0:9 offset1:114
	ds_write2_b64 v122, v[181:182], v[183:184] offset0:91 offset1:196
	;; [unrolled: 1-line block ×4, first 2 shown]
	ds_write_b64 v171, v[138:139] offset:8840
.LBB0_13:
	s_or_b64 exec, exec, s[4:5]
	s_waitcnt lgkmcnt(0)
	; wave barrier
	s_waitcnt lgkmcnt(0)
	ds_read2_b64 v[136:139], v171 offset1:105
	ds_read2_b64 v[128:131], v120 offset0:82 offset1:187
	ds_read2_b64 v[120:123], v122 offset0:36 offset1:141
	;; [unrolled: 1-line block ×4, first 2 shown]
	ds_read_b64 v[169:170], v171 offset:8400
	s_and_saveexec_b64 s[4:5], s[0:1]
	s_cbranch_execz .LBB0_15
; %bb.14:
	v_add_u32_e32 v96, 0x800, v171
	ds_read2_b64 v[102:105], v96 offset0:9 offset1:114
	v_add_u32_e32 v96, 0x1400, v171
	ds_read2_b64 v[108:111], v171 offset0:55 offset1:160
	ds_read2_b64 v[116:119], v96 offset0:45 offset1:150
	v_add_u32_e32 v96, 0x1800, v171
	v_add_u32_e32 v100, 0xc00, v171
	ds_read2_b64 v[96:99], v96 offset0:127 offset1:232
	ds_read2_b64 v[112:115], v100 offset0:91 offset1:196
	ds_read_b64 v[140:141], v171 offset:8840
	s_waitcnt lgkmcnt(3)
	v_mov_b32_e32 v106, v116
	v_mov_b32_e32 v107, v117
	s_waitcnt lgkmcnt(2)
	v_mov_b32_e32 v100, v98
	v_mov_b32_e32 v101, v99
	;; [unrolled: 1-line block ×4, first 2 shown]
.LBB0_15:
	s_or_b64 exec, exec, s[4:5]
	s_waitcnt lgkmcnt(5)
	v_add_f32_e32 v108, v136, v138
	v_add_f32_e32 v109, v137, v139
	s_waitcnt lgkmcnt(4)
	v_add_f32_e32 v108, v108, v128
	v_add_f32_e32 v109, v109, v129
	v_add_f32_e32 v108, v108, v130
	v_add_f32_e32 v109, v109, v131
	s_waitcnt lgkmcnt(3)
	v_add_f32_e32 v108, v108, v120
	v_add_f32_e32 v109, v109, v121
	;; [unrolled: 5-line block ×4, first 2 shown]
	v_add_f32_e32 v108, v108, v134
	v_add_f32_e32 v109, v109, v135
	s_waitcnt lgkmcnt(0)
	v_sub_f32_e32 v117, v139, v170
	v_add_f32_e32 v199, v108, v169
	v_add_f32_e32 v200, v109, v170
	;; [unrolled: 1-line block ×4, first 2 shown]
	v_sub_f32_e32 v116, v138, v169
	v_mul_f32_e32 v138, 0xbf0a6770, v117
	v_mul_f32_e32 v181, 0xbf68dda4, v117
	;; [unrolled: 1-line block ×5, first 2 shown]
	s_mov_b32 s6, 0x3f575c64
	v_mov_b32_e32 v139, v138
	v_mul_f32_e32 v169, 0x3f575c64, v109
	s_mov_b32 s7, 0x3ed4b147
	v_mov_b32_e32 v182, v181
	v_mul_f32_e32 v183, 0x3ed4b147, v109
	;; [unrolled: 3-line block ×5, first 2 shown]
	v_fmac_f32_e32 v139, 0x3f575c64, v108
	v_mov_b32_e32 v170, v169
	v_fma_f32 v138, v108, s6, -v138
	v_fmac_f32_e32 v182, 0x3ed4b147, v108
	v_mov_b32_e32 v184, v183
	v_fma_f32 v181, v108, s7, -v181
	;; [unrolled: 3-line block ×5, first 2 shown]
	v_add_f32_e32 v117, v135, v129
	v_sub_f32_e32 v129, v129, v135
	v_fmac_f32_e32 v170, 0x3f0a6770, v116
	v_fmac_f32_e32 v169, 0xbf0a6770, v116
	;; [unrolled: 1-line block ×10, first 2 shown]
	v_add_f32_e32 v116, v134, v128
	v_sub_f32_e32 v128, v128, v134
	v_mul_f32_e32 v134, 0xbf68dda4, v129
	v_add_f32_e32 v138, v136, v138
	v_mov_b32_e32 v135, v134
	v_fma_f32 v134, v116, s7, -v134
	v_add_f32_e32 v139, v136, v139
	v_add_f32_e32 v182, v136, v182
	;; [unrolled: 1-line block ×9, first 2 shown]
	v_fmac_f32_e32 v135, 0x3ed4b147, v116
	v_mul_f32_e32 v136, 0x3ed4b147, v117
	v_add_f32_e32 v134, v134, v138
	v_mul_f32_e32 v138, 0xbf4178ce, v129
	v_add_f32_e32 v170, v137, v170
	v_add_f32_e32 v169, v137, v169
	;; [unrolled: 1-line block ×11, first 2 shown]
	v_mov_b32_e32 v137, v136
	v_fmac_f32_e32 v136, 0xbf68dda4, v128
	v_mov_b32_e32 v139, v138
	v_fma_f32 v138, v116, s9, -v138
	v_fmac_f32_e32 v137, 0x3f68dda4, v128
	v_add_f32_e32 v136, v136, v169
	v_fmac_f32_e32 v139, 0xbf27a4f4, v116
	v_mul_f32_e32 v169, 0xbf27a4f4, v117
	v_add_f32_e32 v138, v138, v181
	v_mul_f32_e32 v181, 0x3e903f40, v129
	v_add_f32_e32 v137, v137, v170
	v_add_f32_e32 v139, v139, v182
	v_mov_b32_e32 v170, v169
	v_fmac_f32_e32 v169, 0xbf4178ce, v128
	v_mov_b32_e32 v182, v181
	v_fma_f32 v181, v116, s16, -v181
	v_fmac_f32_e32 v170, 0x3f4178ce, v128
	v_add_f32_e32 v169, v169, v183
	v_fmac_f32_e32 v182, 0xbf75a155, v116
	v_mul_f32_e32 v183, 0xbf75a155, v117
	v_add_f32_e32 v181, v181, v185
	v_mul_f32_e32 v185, 0x3f7d64f0, v129
	v_add_f32_e32 v170, v170, v184
	v_add_f32_e32 v182, v182, v186
	v_mov_b32_e32 v184, v183
	v_fmac_f32_e32 v183, 0x3e903f40, v128
	v_mov_b32_e32 v186, v185
	v_fma_f32 v185, v116, s8, -v185
	v_mul_f32_e32 v129, 0x3f0a6770, v129
	v_fmac_f32_e32 v184, 0xbe903f40, v128
	v_add_f32_e32 v183, v183, v187
	v_fmac_f32_e32 v186, 0xbe11bafb, v116
	v_mul_f32_e32 v187, 0xbe11bafb, v117
	v_add_f32_e32 v185, v185, v189
	v_mov_b32_e32 v189, v129
	v_mul_f32_e32 v117, 0x3f575c64, v117
	v_add_f32_e32 v184, v184, v188
	v_add_f32_e32 v186, v186, v190
	v_mov_b32_e32 v188, v187
	v_fmac_f32_e32 v189, 0x3f575c64, v116
	v_mov_b32_e32 v190, v117
	v_fma_f32 v116, v116, s6, -v129
	v_sub_f32_e32 v129, v131, v133
	v_fmac_f32_e32 v188, 0xbf7d64f0, v128
	v_fmac_f32_e32 v187, 0x3f7d64f0, v128
	;; [unrolled: 1-line block ×3, first 2 shown]
	v_add_f32_e32 v108, v116, v108
	v_fmac_f32_e32 v117, 0x3f0a6770, v128
	v_add_f32_e32 v116, v132, v130
	v_sub_f32_e32 v128, v130, v132
	v_mul_f32_e32 v130, 0xbf7d64f0, v129
	v_add_f32_e32 v109, v117, v109
	v_add_f32_e32 v117, v133, v131
	v_mov_b32_e32 v131, v130
	v_fma_f32 v130, v116, s8, -v130
	v_fmac_f32_e32 v131, 0xbe11bafb, v116
	v_mul_f32_e32 v132, 0xbe11bafb, v117
	v_add_f32_e32 v130, v130, v134
	v_mul_f32_e32 v134, 0x3e903f40, v129
	v_add_f32_e32 v131, v131, v135
	v_mov_b32_e32 v133, v132
	v_fmac_f32_e32 v132, 0xbf7d64f0, v128
	v_mov_b32_e32 v135, v134
	v_fma_f32 v134, v116, s16, -v134
	v_fmac_f32_e32 v133, 0x3f7d64f0, v128
	v_add_f32_e32 v132, v132, v136
	v_fmac_f32_e32 v135, 0xbf75a155, v116
	v_mul_f32_e32 v136, 0xbf75a155, v117
	v_add_f32_e32 v134, v134, v138
	v_mul_f32_e32 v138, 0x3f68dda4, v129
	v_add_f32_e32 v133, v133, v137
	v_add_f32_e32 v135, v135, v139
	v_mov_b32_e32 v137, v136
	v_fmac_f32_e32 v136, 0x3e903f40, v128
	v_mov_b32_e32 v139, v138
	v_fma_f32 v138, v116, s7, -v138
	v_fmac_f32_e32 v137, 0xbe903f40, v128
	v_add_f32_e32 v136, v136, v169
	v_fmac_f32_e32 v139, 0x3ed4b147, v116
	v_mul_f32_e32 v169, 0x3ed4b147, v117
	v_add_f32_e32 v138, v138, v181
	v_mul_f32_e32 v181, 0xbf0a6770, v129
	v_add_f32_e32 v137, v137, v170
	v_add_f32_e32 v139, v139, v182
	v_mov_b32_e32 v170, v169
	v_fmac_f32_e32 v169, 0x3f68dda4, v128
	v_mov_b32_e32 v182, v181
	v_add_f32_e32 v169, v169, v183
	v_fmac_f32_e32 v182, 0x3f575c64, v116
	v_mul_f32_e32 v183, 0x3f575c64, v117
	v_fma_f32 v181, v116, s6, -v181
	v_mul_f32_e32 v129, 0xbf4178ce, v129
	v_mul_f32_e32 v117, 0xbf27a4f4, v117
	v_add_f32_e32 v182, v182, v186
	v_add_f32_e32 v181, v181, v185
	v_mov_b32_e32 v185, v129
	v_mov_b32_e32 v186, v117
	v_fmac_f32_e32 v117, 0xbf4178ce, v128
	v_fmac_f32_e32 v185, 0xbf27a4f4, v116
	v_fma_f32 v116, v116, s9, -v129
	v_add_f32_e32 v109, v117, v109
	v_add_f32_e32 v117, v127, v121
	v_sub_f32_e32 v121, v121, v127
	v_fmac_f32_e32 v170, 0xbf68dda4, v128
	v_add_f32_e32 v108, v116, v108
	v_add_f32_e32 v116, v126, v120
	v_sub_f32_e32 v120, v120, v126
	v_mul_f32_e32 v126, 0xbf4178ce, v121
	v_add_f32_e32 v170, v170, v184
	v_mov_b32_e32 v184, v183
	v_mov_b32_e32 v127, v126
	v_fma_f32 v126, v116, s9, -v126
	v_fmac_f32_e32 v184, 0x3f0a6770, v128
	v_fmac_f32_e32 v183, 0xbf0a6770, v128
	;; [unrolled: 1-line block ×4, first 2 shown]
	v_mul_f32_e32 v128, 0xbf27a4f4, v117
	v_add_f32_e32 v126, v126, v130
	v_mul_f32_e32 v130, 0x3f7d64f0, v121
	v_add_f32_e32 v127, v127, v131
	v_mov_b32_e32 v129, v128
	v_fmac_f32_e32 v128, 0xbf4178ce, v120
	v_mov_b32_e32 v131, v130
	v_fma_f32 v130, v116, s8, -v130
	v_fmac_f32_e32 v129, 0x3f4178ce, v120
	v_add_f32_e32 v128, v128, v132
	v_fmac_f32_e32 v131, 0xbe11bafb, v116
	v_mul_f32_e32 v132, 0xbe11bafb, v117
	v_add_f32_e32 v130, v130, v134
	v_mul_f32_e32 v134, 0xbf0a6770, v121
	v_add_f32_e32 v129, v129, v133
	v_add_f32_e32 v131, v131, v135
	v_mov_b32_e32 v133, v132
	v_fmac_f32_e32 v132, 0x3f7d64f0, v120
	v_mov_b32_e32 v135, v134
	v_fma_f32 v134, v116, s6, -v134
	v_fmac_f32_e32 v133, 0xbf7d64f0, v120
	v_add_f32_e32 v132, v132, v136
	v_fmac_f32_e32 v135, 0x3f575c64, v116
	v_mul_f32_e32 v136, 0x3f575c64, v117
	v_add_f32_e32 v134, v134, v138
	v_mul_f32_e32 v138, 0xbe903f40, v121
	v_add_f32_e32 v133, v133, v137
	v_add_f32_e32 v135, v135, v139
	v_mov_b32_e32 v137, v136
	v_fmac_f32_e32 v136, 0xbf0a6770, v120
	v_mov_b32_e32 v139, v138
	v_fma_f32 v138, v116, s16, -v138
	v_mul_f32_e32 v121, 0x3f68dda4, v121
	v_fmac_f32_e32 v137, 0x3f0a6770, v120
	v_add_f32_e32 v136, v136, v169
	v_fmac_f32_e32 v139, 0xbf75a155, v116
	v_mul_f32_e32 v169, 0xbf75a155, v117
	v_add_f32_e32 v138, v138, v181
	v_mov_b32_e32 v181, v121
	v_mul_f32_e32 v117, 0x3ed4b147, v117
	v_add_f32_e32 v137, v137, v170
	v_add_f32_e32 v139, v139, v182
	v_mov_b32_e32 v170, v169
	v_fmac_f32_e32 v181, 0x3ed4b147, v116
	v_mov_b32_e32 v182, v117
	v_fma_f32 v116, v116, s7, -v121
	v_sub_f32_e32 v121, v123, v125
	v_fmac_f32_e32 v170, 0x3e903f40, v120
	v_fmac_f32_e32 v169, 0xbe903f40, v120
	;; [unrolled: 1-line block ×3, first 2 shown]
	v_add_f32_e32 v108, v116, v108
	v_fmac_f32_e32 v117, 0x3f68dda4, v120
	v_add_f32_e32 v116, v124, v122
	v_sub_f32_e32 v120, v122, v124
	v_mul_f32_e32 v122, 0xbe903f40, v121
	v_add_f32_e32 v109, v117, v109
	v_add_f32_e32 v117, v125, v123
	v_mov_b32_e32 v123, v122
	v_fmac_f32_e32 v123, 0xbf75a155, v116
	v_add_f32_e32 v201, v123, v127
	v_mul_f32_e32 v123, 0xbf75a155, v117
	v_fma_f32 v122, v116, s16, -v122
	v_mov_b32_e32 v124, v123
	v_add_f32_e32 v203, v122, v126
	v_fmac_f32_e32 v123, 0xbe903f40, v120
	v_mul_f32_e32 v122, 0x3f0a6770, v121
	v_add_f32_e32 v204, v123, v128
	v_mov_b32_e32 v123, v122
	v_fmac_f32_e32 v123, 0x3f575c64, v116
	v_fmac_f32_e32 v124, 0x3e903f40, v120
	v_add_f32_e32 v205, v123, v131
	v_mul_f32_e32 v123, 0x3f575c64, v117
	v_fma_f32 v122, v116, s6, -v122
	v_add_f32_e32 v202, v124, v129
	v_mov_b32_e32 v124, v123
	v_add_f32_e32 v207, v122, v130
	v_fmac_f32_e32 v123, 0x3f0a6770, v120
	v_mul_f32_e32 v122, 0xbf4178ce, v121
	v_add_f32_e32 v208, v123, v132
	v_mov_b32_e32 v123, v122
	v_fmac_f32_e32 v123, 0xbf27a4f4, v116
	v_fmac_f32_e32 v124, 0xbf0a6770, v120
	v_add_f32_e32 v209, v123, v135
	v_mul_f32_e32 v123, 0xbf27a4f4, v117
	v_fma_f32 v122, v116, s9, -v122
	v_add_f32_e32 v206, v124, v133
	v_mov_b32_e32 v124, v123
	v_add_f32_e32 v211, v122, v134
	v_fmac_f32_e32 v123, 0xbf4178ce, v120
	v_mul_f32_e32 v122, 0x3f68dda4, v121
	v_add_f32_e32 v189, v189, v193
	v_add_f32_e32 v212, v123, v136
	v_mov_b32_e32 v123, v122
	v_fma_f32 v122, v116, s7, -v122
	v_mul_f32_e32 v121, 0xbf7d64f0, v121
	v_add_f32_e32 v185, v185, v189
	v_fmac_f32_e32 v123, 0x3ed4b147, v116
	v_add_f32_e32 v215, v122, v138
	v_mov_b32_e32 v122, v121
	v_add_f32_e32 v190, v190, v194
	v_add_f32_e32 v181, v181, v185
	v_fmac_f32_e32 v124, 0x3f4178ce, v120
	v_add_f32_e32 v213, v123, v139
	v_mul_f32_e32 v123, 0x3ed4b147, v117
	v_fmac_f32_e32 v122, 0xbe11bafb, v116
	v_mul_f32_e32 v117, 0xbe11bafb, v117
	v_fma_f32 v116, v116, s8, -v121
	v_sub_f32_e32 v138, v111, v141
	v_add_f32_e32 v186, v186, v190
	v_add_f32_e32 v210, v124, v137
	v_mov_b32_e32 v124, v123
	v_add_f32_e32 v217, v122, v181
	v_mov_b32_e32 v122, v117
	v_add_f32_e32 v219, v116, v108
	v_add_f32_e32 v116, v140, v110
	v_add_f32_e32 v185, v141, v111
	v_mul_f32_e32 v131, 0xbf68dda4, v138
	v_add_f32_e32 v187, v187, v191
	v_add_f32_e32 v182, v182, v186
	v_fmac_f32_e32 v124, 0xbf68dda4, v120
	v_fmac_f32_e32 v123, 0x3f68dda4, v120
	;; [unrolled: 1-line block ×4, first 2 shown]
	v_mul_f32_e32 v134, 0x3ed4b147, v185
	v_fma_f32 v120, v116, s7, -v131
	v_add_f32_e32 v188, v188, v192
	v_add_f32_e32 v183, v183, v187
	v_add_f32_e32 v218, v122, v182
	v_add_f32_e32 v220, v117, v109
	v_sub_f32_e32 v117, v110, v140
	v_add_f32_e32 v122, v98, v120
	v_mov_b32_e32 v120, v134
	v_add_f32_e32 v184, v184, v188
	v_add_f32_e32 v169, v169, v183
	v_mul_f32_e32 v127, 0xbf0a6770, v138
	v_fmac_f32_e32 v120, 0xbf68dda4, v117
	v_sub_f32_e32 v183, v103, v101
	v_add_f32_e32 v170, v170, v184
	v_add_f32_e32 v216, v123, v169
	v_mul_f32_e32 v129, 0x3f575c64, v185
	v_fma_f32 v108, v116, s6, -v127
	v_add_f32_e32 v123, v99, v120
	v_add_f32_e32 v120, v100, v102
	;; [unrolled: 1-line block ×3, first 2 shown]
	v_mul_f32_e32 v130, 0xbf68dda4, v183
	v_add_f32_e32 v214, v124, v170
	v_add_f32_e32 v108, v98, v108
	v_mov_b32_e32 v109, v129
	v_mul_f32_e32 v132, 0x3ed4b147, v190
	v_fma_f32 v124, v120, s7, -v130
	v_fmac_f32_e32 v109, 0xbf0a6770, v117
	v_sub_f32_e32 v121, v102, v100
	v_add_f32_e32 v108, v124, v108
	v_mov_b32_e32 v124, v132
	v_add_f32_e32 v109, v99, v109
	v_fmac_f32_e32 v124, 0xbf68dda4, v121
	v_mul_f32_e32 v135, 0xbf4178ce, v183
	v_add_f32_e32 v109, v124, v109
	v_mul_f32_e32 v139, 0xbf27a4f4, v190
	v_fma_f32 v124, v120, s9, -v135
	v_add_f32_e32 v124, v124, v122
	v_mov_b32_e32 v122, v139
	v_fmac_f32_e32 v122, 0xbf4178ce, v121
	v_sub_f32_e32 v189, v105, v97
	v_add_f32_e32 v125, v122, v123
	v_add_f32_e32 v122, v96, v104
	v_add_f32_e32 v194, v97, v105
	v_mul_f32_e32 v133, 0xbf7d64f0, v189
	v_mul_f32_e32 v136, 0xbe11bafb, v194
	v_fma_f32 v126, v122, s8, -v133
	v_sub_f32_e32 v123, v104, v96
	v_add_f32_e32 v108, v126, v108
	v_mov_b32_e32 v126, v136
	v_fmac_f32_e32 v126, 0xbf7d64f0, v123
	v_mul_f32_e32 v181, 0x3e903f40, v189
	v_add_f32_e32 v109, v126, v109
	v_mul_f32_e32 v186, 0xbf75a155, v194
	v_fma_f32 v126, v122, s16, -v181
	v_add_f32_e32 v126, v126, v124
	v_mov_b32_e32 v124, v186
	v_fmac_f32_e32 v124, 0x3e903f40, v123
	v_sub_f32_e32 v192, v113, v119
	v_add_f32_e32 v128, v124, v125
	v_add_f32_e32 v124, v118, v112
	v_add_f32_e32 v197, v119, v113
	v_mul_f32_e32 v137, 0xbf4178ce, v192
	v_mul_f32_e32 v182, 0xbf27a4f4, v197
	v_fma_f32 v169, v124, s9, -v137
	v_sub_f32_e32 v125, v112, v118
	v_add_f32_e32 v108, v169, v108
	v_mov_b32_e32 v169, v182
	;; [unrolled: 18-line block ×3, first 2 shown]
	v_fmac_f32_e32 v193, 0xbe903f40, v128
	v_add_f32_e32 v109, v193, v109
	v_mul_f32_e32 v193, 0x3f0a6770, v196
	v_mul_f32_e32 v195, 0x3f575c64, v198
	v_fma_f32 v221, v126, s6, -v193
	v_add_f32_e32 v169, v221, v169
	v_mov_b32_e32 v221, v195
	v_fmac_f32_e32 v221, 0x3f0a6770, v128
	v_add_f32_e32 v170, v221, v170
	s_waitcnt lgkmcnt(0)
	; wave barrier
	ds_write2_b64 v174, v[199:200], v[201:202] offset1:1
	ds_write2_b64 v174, v[205:206], v[209:210] offset0:2 offset1:3
	ds_write2_b64 v174, v[213:214], v[217:218] offset0:4 offset1:5
	;; [unrolled: 1-line block ×4, first 2 shown]
	ds_write_b64 v174, v[203:204] offset:80
	s_and_saveexec_b64 s[4:5], s[0:1]
	s_cbranch_execz .LBB0_17
; %bb.16:
	v_mul_f32_e32 v203, 0xbf4178ce, v117
	v_mov_b32_e32 v199, v203
	v_mul_f32_e32 v204, 0x3f7d64f0, v121
	v_fmac_f32_e32 v199, 0xbf27a4f4, v185
	v_mov_b32_e32 v200, v204
	v_add_f32_e32 v199, v99, v199
	v_fmac_f32_e32 v200, 0xbe11bafb, v190
	v_mul_f32_e32 v224, 0xbf0a6770, v123
	v_add_f32_e32 v199, v200, v199
	v_mov_b32_e32 v200, v224
	v_fmac_f32_e32 v200, 0x3f575c64, v194
	v_mul_f32_e32 v225, 0xbe903f40, v125
	v_add_f32_e32 v199, v200, v199
	v_mov_b32_e32 v200, v225
	;; [unrolled: 4-line block ×3, first 2 shown]
	v_fmac_f32_e32 v200, 0x3ed4b147, v198
	v_mul_f32_e32 v227, 0xbf4178ce, v138
	v_add_f32_e32 v200, v200, v199
	v_fma_f32 v199, v116, s9, -v227
	v_mul_f32_e32 v228, 0x3f7d64f0, v183
	v_add_f32_e32 v199, v98, v199
	v_fma_f32 v201, v120, s8, -v228
	;; [unrolled: 3-line block ×4, first 2 shown]
	v_mul_f32_e32 v231, 0x3f68dda4, v196
	v_fma_f32 v203, v185, s9, -v203
	v_add_f32_e32 v199, v201, v199
	v_fma_f32 v201, v126, s7, -v231
	v_mul_f32_e32 v232, 0xbf75a155, v185
	v_add_f32_e32 v203, v99, v203
	v_fma_f32 v204, v190, s8, -v204
	v_add_f32_e32 v199, v201, v199
	v_mov_b32_e32 v201, v232
	v_mul_f32_e32 v233, 0x3f575c64, v190
	v_add_f32_e32 v203, v204, v203
	v_fma_f32 v204, v194, s6, -v224
	v_mul_f32_e32 v185, 0xbe11bafb, v185
	v_fmac_f32_e32 v201, 0x3e903f40, v117
	v_mov_b32_e32 v202, v233
	v_add_f32_e32 v203, v204, v203
	v_fma_f32 v204, v197, s16, -v225
	v_mov_b32_e32 v224, v185
	v_mul_f32_e32 v225, 0xbf75a155, v190
	v_add_f32_e32 v201, v99, v201
	v_fmac_f32_e32 v202, 0xbf0a6770, v121
	v_mul_f32_e32 v234, 0xbf27a4f4, v194
	v_fmac_f32_e32 v224, 0x3f7d64f0, v117
	v_mov_b32_e32 v190, v225
	v_add_f32_e32 v201, v202, v201
	v_mov_b32_e32 v202, v234
	v_add_f32_e32 v224, v99, v224
	v_fmac_f32_e32 v190, 0xbe903f40, v121
	v_mul_f32_e32 v194, 0x3ed4b147, v194
	v_fmac_f32_e32 v202, 0x3f4178ce, v123
	v_mul_f32_e32 v235, 0x3ed4b147, v197
	v_add_f32_e32 v190, v190, v224
	v_mov_b32_e32 v224, v194
	v_add_f32_e32 v201, v202, v201
	v_mov_b32_e32 v202, v235
	v_fmac_f32_e32 v224, 0xbf68dda4, v123
	v_mul_f32_e32 v197, 0x3f575c64, v197
	v_fmac_f32_e32 v202, 0xbf68dda4, v125
	v_mul_f32_e32 v236, 0xbe11bafb, v198
	v_add_f32_e32 v190, v224, v190
	v_mov_b32_e32 v224, v197
	v_add_f32_e32 v201, v202, v201
	v_mov_b32_e32 v202, v236
	v_add_f32_e32 v203, v204, v203
	v_fma_f32 v204, v198, s7, -v226
	v_fmac_f32_e32 v224, 0x3f0a6770, v125
	v_mul_f32_e32 v198, 0xbf27a4f4, v198
	v_add_f32_e32 v111, v111, v99
	v_fmac_f32_e32 v202, 0x3f7d64f0, v128
	v_mul_f32_e32 v237, 0xbe903f40, v138
	v_add_f32_e32 v190, v224, v190
	v_mov_b32_e32 v224, v198
	v_add_f32_e32 v103, v103, v111
	v_add_f32_e32 v202, v202, v201
	v_mov_b32_e32 v201, v237
	v_mul_f32_e32 v238, 0x3f0a6770, v183
	v_fmac_f32_e32 v224, 0x3f4178ce, v128
	v_add_f32_e32 v103, v105, v103
	v_fmac_f32_e32 v201, 0xbf75a155, v116
	v_mov_b32_e32 v239, v238
	v_add_f32_e32 v190, v224, v190
	v_mul_f32_e32 v224, 0xbf7d64f0, v138
	v_add_f32_e32 v103, v113, v103
	v_add_f32_e32 v201, v98, v201
	v_fmac_f32_e32 v239, 0x3f575c64, v120
	v_mov_b32_e32 v138, v224
	v_mul_f32_e32 v183, 0x3e903f40, v183
	v_add_f32_e32 v103, v115, v103
	v_add_f32_e32 v201, v239, v201
	v_mul_f32_e32 v239, 0xbf4178ce, v189
	v_fmac_f32_e32 v138, 0xbe11bafb, v116
	v_mov_b32_e32 v226, v183
	v_add_f32_e32 v103, v107, v103
	v_mov_b32_e32 v240, v239
	v_add_f32_e32 v138, v98, v138
	v_fmac_f32_e32 v226, 0xbf75a155, v120
	v_add_f32_e32 v103, v119, v103
	v_fmac_f32_e32 v240, 0xbf27a4f4, v122
	v_add_f32_e32 v138, v226, v138
	v_mul_f32_e32 v226, 0x3f68dda4, v189
	v_add_f32_e32 v97, v97, v103
	v_add_f32_e32 v201, v240, v201
	v_mul_f32_e32 v240, 0x3f68dda4, v192
	v_mov_b32_e32 v189, v226
	v_add_f32_e32 v97, v101, v97
	v_add_f32_e32 v101, v110, v98
	v_mov_b32_e32 v241, v240
	v_fmac_f32_e32 v189, 0x3ed4b147, v122
	v_mul_f32_e32 v192, 0xbf0a6770, v192
	v_add_f32_e32 v101, v102, v101
	v_fmac_f32_e32 v241, 0x3ed4b147, v124
	v_add_f32_e32 v138, v189, v138
	v_mov_b32_e32 v189, v192
	v_add_f32_e32 v101, v104, v101
	v_add_f32_e32 v201, v241, v201
	v_mul_f32_e32 v241, 0xbf7d64f0, v196
	v_fmac_f32_e32 v189, 0x3f575c64, v124
	v_mul_f32_e32 v196, 0xbf4178ce, v196
	v_add_f32_e32 v101, v112, v101
	v_mul_f32_e32 v207, 0xbf68dda4, v117
	v_add_f32_e32 v138, v189, v138
	v_mov_b32_e32 v189, v196
	v_add_f32_e32 v101, v114, v101
	v_mul_f32_e32 v211, 0xbf4178ce, v121
	v_fmac_f32_e32 v189, 0xbf27a4f4, v126
	v_sub_f32_e32 v134, v134, v207
	v_add_f32_e32 v101, v106, v101
	v_mul_f32_e32 v215, 0x3e903f40, v123
	v_add_f32_e32 v189, v189, v138
	v_add_f32_e32 v134, v99, v134
	v_sub_f32_e32 v138, v139, v211
	v_add_f32_e32 v101, v118, v101
	v_mul_f32_e32 v219, 0x3f7d64f0, v125
	v_add_f32_e32 v134, v138, v134
	v_sub_f32_e32 v138, v186, v215
	v_add_f32_e32 v96, v96, v101
	v_fmac_f32_e32 v232, 0xbe903f40, v117
	v_mul_f32_e32 v206, 0x3ed4b147, v116
	v_mul_f32_e32 v223, 0x3f0a6770, v128
	v_add_f32_e32 v134, v138, v134
	v_sub_f32_e32 v138, v191, v219
	v_add_f32_e32 v96, v100, v96
	v_add_f32_e32 v100, v99, v232
	v_fmac_f32_e32 v233, 0x3f0a6770, v121
	v_mul_f32_e32 v210, 0xbf27a4f4, v120
	v_add_f32_e32 v134, v138, v134
	v_sub_f32_e32 v138, v195, v223
	v_add_f32_e32 v131, v206, v131
	v_add_f32_e32 v100, v233, v100
	v_fmac_f32_e32 v234, 0xbf4178ce, v123
	v_mul_f32_e32 v214, 0xbf75a155, v122
	v_add_f32_e32 v139, v138, v134
	v_add_f32_e32 v131, v98, v131
	;; [unrolled: 1-line block ×4, first 2 shown]
	v_fmac_f32_e32 v235, 0x3f68dda4, v125
	v_mul_f32_e32 v218, 0xbe11bafb, v124
	v_add_f32_e32 v131, v134, v131
	v_add_f32_e32 v134, v214, v181
	;; [unrolled: 1-line block ×3, first 2 shown]
	v_fmac_f32_e32 v236, 0xbf7d64f0, v128
	v_mul_f32_e32 v205, 0xbf0a6770, v117
	v_mul_f32_e32 v222, 0x3f575c64, v126
	v_add_f32_e32 v131, v134, v131
	v_add_f32_e32 v134, v218, v187
	;; [unrolled: 1-line block ×3, first 2 shown]
	v_fma_f32 v100, v116, s16, -v237
	v_mul_f32_e32 v209, 0xbf68dda4, v121
	v_add_f32_e32 v131, v134, v131
	v_add_f32_e32 v134, v222, v193
	v_sub_f32_e32 v129, v129, v205
	v_add_f32_e32 v100, v98, v100
	v_fma_f32 v102, v120, s6, -v238
	v_mul_f32_e32 v213, 0xbf7d64f0, v123
	v_add_f32_e32 v138, v134, v131
	v_add_f32_e32 v129, v99, v129
	v_sub_f32_e32 v131, v132, v209
	v_add_f32_e32 v100, v102, v100
	v_fma_f32 v102, v122, s9, -v239
	v_mul_f32_e32 v217, 0xbf4178ce, v125
	v_add_f32_e32 v129, v131, v129
	v_sub_f32_e32 v131, v136, v213
	v_add_f32_e32 v100, v102, v100
	v_fma_f32 v102, v124, s7, -v240
	v_mul_f32_e32 v174, 0x3f575c64, v116
	v_mul_f32_e32 v221, 0xbe903f40, v128
	v_add_f32_e32 v129, v131, v129
	v_sub_f32_e32 v131, v182, v217
	v_add_f32_e32 v100, v102, v100
	v_fma_f32 v102, v126, s8, -v241
	v_mul_f32_e32 v208, 0x3ed4b147, v120
	v_fmac_f32_e32 v227, 0xbf27a4f4, v116
	v_add_f32_e32 v129, v131, v129
	v_sub_f32_e32 v131, v188, v221
	v_add_f32_e32 v127, v174, v127
	v_add_f32_e32 v100, v102, v100
	v_fma_f32 v102, v116, s8, -v224
	v_mul_f32_e32 v212, 0xbe11bafb, v122
	v_add_f32_e32 v204, v204, v203
	v_add_f32_e32 v203, v98, v227
	;; [unrolled: 1-line block ×5, first 2 shown]
	v_fmac_f32_e32 v185, 0xbf7d64f0, v117
	v_add_f32_e32 v98, v98, v102
	v_fma_f32 v102, v120, s16, -v183
	v_mul_f32_e32 v216, 0xbf27a4f4, v124
	v_fmac_f32_e32 v228, 0xbe11bafb, v120
	v_add_f32_e32 v127, v129, v127
	v_add_f32_e32 v129, v212, v133
	;; [unrolled: 1-line block ×3, first 2 shown]
	v_fmac_f32_e32 v225, 0x3e903f40, v121
	v_add_f32_e32 v98, v102, v98
	v_fma_f32 v102, v122, s7, -v226
	v_mul_f32_e32 v220, 0xbf75a155, v126
	v_add_f32_e32 v203, v228, v203
	v_fmac_f32_e32 v229, 0x3f575c64, v122
	v_add_f32_e32 v127, v129, v127
	v_add_f32_e32 v129, v216, v137
	v_add_f32_e32 v99, v225, v99
	v_fmac_f32_e32 v194, 0x3f68dda4, v123
	v_add_f32_e32 v98, v102, v98
	v_fma_f32 v102, v124, s6, -v192
	v_mov_b32_e32 v242, v241
	v_add_f32_e32 v203, v229, v203
	v_fmac_f32_e32 v230, 0xbf75a155, v124
	v_add_f32_e32 v127, v129, v127
	v_add_f32_e32 v129, v220, v184
	;; [unrolled: 1-line block ×3, first 2 shown]
	v_fmac_f32_e32 v197, 0xbf0a6770, v125
	v_add_f32_e32 v98, v102, v98
	v_fma_f32 v102, v126, s9, -v196
	v_fmac_f32_e32 v242, 0xbe11bafb, v126
	v_add_f32_e32 v203, v230, v203
	v_fmac_f32_e32 v231, 0x3ed4b147, v126
	v_add_f32_e32 v130, v129, v127
	v_add_f32_e32 v97, v141, v97
	;; [unrolled: 1-line block ×4, first 2 shown]
	v_fmac_f32_e32 v198, 0xbf4178ce, v128
	v_add_f32_e32 v98, v102, v98
	v_lshlrev_b32_e32 v102, 3, v173
	v_add_f32_e32 v201, v242, v201
	v_add_f32_e32 v203, v231, v203
	;; [unrolled: 1-line block ×3, first 2 shown]
	ds_write2_b64 v102, v[96:97], v[130:131] offset1:1
	ds_write2_b64 v102, v[138:139], v[189:190] offset0:2 offset1:3
	ds_write2_b64 v102, v[203:204], v[201:202] offset0:4 offset1:5
	;; [unrolled: 1-line block ×4, first 2 shown]
	ds_write_b64 v102, v[108:109] offset:80
.LBB0_17:
	s_or_b64 exec, exec, s[4:5]
	v_add_u32_e32 v96, 0x400, v171
	s_waitcnt lgkmcnt(0)
	; wave barrier
	s_waitcnt lgkmcnt(0)
	ds_read2_b64 v[138:141], v96 offset0:103 offset1:158
	v_add_u32_e32 v96, 0xc00, v171
	v_add_u32_e32 v104, 0x1000, v171
	;; [unrolled: 1-line block ×4, first 2 shown]
	ds_read2_b64 v[100:103], v171 offset1:55
	ds_read2_b64 v[134:137], v96 offset0:78 offset1:133
	ds_read2_b64 v[130:133], v104 offset0:181 offset1:236
	;; [unrolled: 1-line block ×7, first 2 shown]
	v_add_u32_e32 v104, 0x2000, v171
	ds_read2_b64 v[110:113], v104 offset0:10 offset1:65
	s_and_saveexec_b64 s[4:5], s[2:3]
	s_cbranch_execz .LBB0_19
; %bb.18:
	v_add_u32_e32 v52, 0x680, v171
	ds_read2_b64 v[106:109], v52 offset0:12 offset1:243
	v_add_u32_e32 v52, 0x1500, v171
	ds_read_b64 v[167:168], v171 offset:9152
	ds_read2_b64 v[52:55], v52 offset0:10 offset1:241
	s_waitcnt lgkmcnt(2)
	v_mov_b32_e32 v169, v106
	v_mov_b32_e32 v170, v107
.LBB0_19:
	s_or_b64 exec, exec, s[4:5]
	s_waitcnt lgkmcnt(9)
	v_mul_f32_e32 v104, v13, v139
	v_mul_f32_e32 v13, v13, v138
	v_fmac_f32_e32 v104, v12, v138
	v_fma_f32 v105, v12, v139, -v13
	s_waitcnt lgkmcnt(7)
	v_mul_f32_e32 v106, v15, v135
	v_mul_f32_e32 v12, v15, v134
	s_waitcnt lgkmcnt(6)
	v_mul_f32_e32 v15, v9, v131
	v_mul_f32_e32 v9, v9, v130
	v_fmac_f32_e32 v15, v8, v130
	v_fma_f32 v130, v8, v131, -v9
	s_waitcnt lgkmcnt(5)
	v_mul_f32_e32 v13, v11, v127
	v_mul_f32_e32 v8, v11, v126
	v_fmac_f32_e32 v13, v10, v126
	v_fma_f32 v126, v10, v127, -v8
	v_mul_f32_e32 v8, v21, v140
	v_fmac_f32_e32 v106, v14, v134
	v_fma_f32 v131, v20, v141, -v8
	v_mul_f32_e32 v134, v23, v137
	v_mul_f32_e32 v8, v23, v136
	v_fma_f32 v107, v14, v135, -v12
	v_fmac_f32_e32 v134, v22, v136
	v_fma_f32 v135, v22, v137, -v8
	v_mul_f32_e32 v136, v17, v133
	v_mul_f32_e32 v8, v17, v132
	v_fmac_f32_e32 v136, v16, v132
	v_fma_f32 v132, v16, v133, -v8
	v_mul_f32_e32 v23, v19, v129
	v_mul_f32_e32 v8, v19, v128
	v_fmac_f32_e32 v23, v18, v128
	v_fma_f32 v128, v18, v129, -v8
	s_waitcnt lgkmcnt(3)
	v_mul_f32_e32 v129, v29, v123
	v_mul_f32_e32 v8, v29, v122
	v_fmac_f32_e32 v129, v28, v122
	v_fma_f32 v122, v28, v123, -v8
	s_waitcnt lgkmcnt(2)
	v_mul_f32_e32 v123, v31, v119
	v_mul_f32_e32 v8, v31, v118
	v_add_f32_e32 v9, v106, v15
	v_fmac_f32_e32 v123, v30, v118
	v_fma_f32 v118, v30, v119, -v8
	s_waitcnt lgkmcnt(1)
	v_mul_f32_e32 v119, v25, v115
	v_mul_f32_e32 v8, v25, v114
	v_fma_f32 v10, -0.5, v9, v100
	v_fmac_f32_e32 v119, v24, v114
	v_fma_f32 v114, v24, v115, -v8
	s_waitcnt lgkmcnt(0)
	v_mul_f32_e32 v31, v27, v111
	v_mul_f32_e32 v8, v27, v110
	v_sub_f32_e32 v9, v105, v126
	v_mov_b32_e32 v12, v10
	v_fmac_f32_e32 v31, v26, v110
	v_fma_f32 v110, v26, v111, -v8
	v_mul_f32_e32 v111, v37, v125
	v_mul_f32_e32 v8, v37, v124
	v_fmac_f32_e32 v12, 0xbf737871, v9
	v_sub_f32_e32 v11, v107, v130
	v_sub_f32_e32 v14, v104, v106
	;; [unrolled: 1-line block ×3, first 2 shown]
	v_fmac_f32_e32 v10, 0x3f737871, v9
	v_fmac_f32_e32 v111, v36, v124
	v_fma_f32 v115, v36, v125, -v8
	v_mul_f32_e32 v124, v39, v121
	v_mul_f32_e32 v8, v39, v120
	v_fmac_f32_e32 v12, 0xbf167918, v11
	v_add_f32_e32 v14, v14, v16
	v_fmac_f32_e32 v10, 0x3f167918, v11
	v_fmac_f32_e32 v124, v38, v120
	v_fma_f32 v120, v38, v121, -v8
	v_mul_f32_e32 v121, v33, v117
	v_mul_f32_e32 v8, v33, v116
	v_fmac_f32_e32 v12, 0x3e9e377a, v14
	v_fmac_f32_e32 v10, 0x3e9e377a, v14
	v_add_f32_e32 v14, v104, v13
	v_fmac_f32_e32 v121, v32, v116
	v_fma_f32 v116, v32, v117, -v8
	v_mul_f32_e32 v117, v35, v113
	v_mul_f32_e32 v8, v35, v112
	v_fma_f32 v14, -0.5, v14, v100
	v_fmac_f32_e32 v117, v34, v112
	v_fma_f32 v112, v34, v113, -v8
	v_add_f32_e32 v8, v100, v104
	v_mov_b32_e32 v16, v14
	v_add_f32_e32 v8, v8, v106
	v_fmac_f32_e32 v16, 0x3f737871, v11
	v_fmac_f32_e32 v14, 0xbf737871, v11
	v_add_f32_e32 v11, v107, v130
	v_add_f32_e32 v8, v8, v15
	v_sub_f32_e32 v17, v106, v104
	v_sub_f32_e32 v18, v15, v13
	v_fma_f32 v11, -0.5, v11, v101
	v_add_f32_e32 v8, v8, v13
	v_fmac_f32_e32 v16, 0xbf167918, v9
	v_add_f32_e32 v17, v17, v18
	v_fmac_f32_e32 v14, 0x3f167918, v9
	v_sub_f32_e32 v18, v104, v13
	v_mov_b32_e32 v13, v11
	v_fmac_f32_e32 v16, 0x3e9e377a, v17
	v_fmac_f32_e32 v14, 0x3e9e377a, v17
	;; [unrolled: 1-line block ×3, first 2 shown]
	v_sub_f32_e32 v19, v106, v15
	v_sub_f32_e32 v15, v105, v107
	;; [unrolled: 1-line block ×3, first 2 shown]
	v_fmac_f32_e32 v11, 0xbf737871, v18
	v_fmac_f32_e32 v13, 0x3f167918, v19
	v_add_f32_e32 v15, v15, v17
	v_fmac_f32_e32 v11, 0xbf167918, v19
	v_fmac_f32_e32 v13, 0x3e9e377a, v15
	v_fmac_f32_e32 v11, 0x3e9e377a, v15
	v_add_f32_e32 v15, v105, v126
	v_fma_f32 v15, -0.5, v15, v101
	v_mul_f32_e32 v127, v21, v141
	v_mov_b32_e32 v17, v15
	v_fmac_f32_e32 v127, v20, v140
	v_fmac_f32_e32 v17, 0xbf737871, v19
	v_sub_f32_e32 v20, v107, v105
	v_sub_f32_e32 v21, v130, v126
	v_fmac_f32_e32 v15, 0x3f737871, v19
	v_fmac_f32_e32 v17, 0x3f167918, v18
	v_add_f32_e32 v20, v20, v21
	v_fmac_f32_e32 v15, 0xbf167918, v18
	v_add_f32_e32 v19, v134, v136
	v_fmac_f32_e32 v17, 0x3e9e377a, v20
	v_fmac_f32_e32 v15, 0x3e9e377a, v20
	v_fma_f32 v20, -0.5, v19, v102
	v_sub_f32_e32 v19, v131, v128
	v_mov_b32_e32 v22, v20
	v_fmac_f32_e32 v22, 0xbf737871, v19
	v_sub_f32_e32 v21, v135, v132
	v_sub_f32_e32 v24, v127, v134
	v_sub_f32_e32 v25, v23, v136
	v_fmac_f32_e32 v20, 0x3f737871, v19
	v_fmac_f32_e32 v22, 0xbf167918, v21
	v_add_f32_e32 v24, v24, v25
	v_fmac_f32_e32 v20, 0x3f167918, v21
	v_fmac_f32_e32 v22, 0x3e9e377a, v24
	;; [unrolled: 1-line block ×3, first 2 shown]
	v_add_f32_e32 v24, v127, v23
	v_add_f32_e32 v18, v102, v127
	v_fma_f32 v102, -0.5, v24, v102
	v_mov_b32_e32 v24, v102
	v_add_f32_e32 v18, v18, v134
	v_fmac_f32_e32 v24, 0x3f737871, v21
	v_fmac_f32_e32 v102, 0xbf737871, v21
	v_add_f32_e32 v21, v135, v132
	v_add_f32_e32 v18, v18, v136
	v_sub_f32_e32 v25, v134, v127
	v_sub_f32_e32 v26, v136, v23
	v_fma_f32 v21, -0.5, v21, v103
	v_add_f32_e32 v18, v18, v23
	v_fmac_f32_e32 v24, 0xbf167918, v19
	v_add_f32_e32 v25, v25, v26
	v_fmac_f32_e32 v102, 0x3f167918, v19
	v_sub_f32_e32 v26, v127, v23
	v_mov_b32_e32 v23, v21
	v_fmac_f32_e32 v24, 0x3e9e377a, v25
	v_fmac_f32_e32 v102, 0x3e9e377a, v25
	;; [unrolled: 1-line block ×3, first 2 shown]
	v_sub_f32_e32 v27, v134, v136
	v_sub_f32_e32 v25, v131, v135
	;; [unrolled: 1-line block ×3, first 2 shown]
	v_fmac_f32_e32 v21, 0xbf737871, v26
	v_fmac_f32_e32 v23, 0x3f167918, v27
	v_add_f32_e32 v25, v25, v28
	v_fmac_f32_e32 v21, 0xbf167918, v27
	v_fmac_f32_e32 v23, 0x3e9e377a, v25
	;; [unrolled: 1-line block ×3, first 2 shown]
	v_add_f32_e32 v25, v131, v128
	v_add_f32_e32 v19, v103, v131
	v_fmac_f32_e32 v103, -0.5, v25
	v_mov_b32_e32 v25, v103
	v_fmac_f32_e32 v25, 0xbf737871, v27
	v_sub_f32_e32 v28, v135, v131
	v_sub_f32_e32 v29, v132, v128
	v_fmac_f32_e32 v103, 0x3f737871, v27
	v_fmac_f32_e32 v25, 0x3f167918, v26
	v_add_f32_e32 v28, v28, v29
	v_fmac_f32_e32 v103, 0xbf167918, v26
	v_add_f32_e32 v27, v123, v119
	v_fmac_f32_e32 v25, 0x3e9e377a, v28
	v_fmac_f32_e32 v103, 0x3e9e377a, v28
	v_fma_f32 v28, -0.5, v27, v96
	v_sub_f32_e32 v27, v122, v110
	v_mov_b32_e32 v30, v28
	v_fmac_f32_e32 v30, 0xbf737871, v27
	v_sub_f32_e32 v29, v118, v114
	v_sub_f32_e32 v32, v129, v123
	;; [unrolled: 1-line block ×3, first 2 shown]
	v_fmac_f32_e32 v28, 0x3f737871, v27
	v_fmac_f32_e32 v30, 0xbf167918, v29
	v_add_f32_e32 v32, v32, v33
	v_fmac_f32_e32 v28, 0x3f167918, v29
	v_fmac_f32_e32 v30, 0x3e9e377a, v32
	;; [unrolled: 1-line block ×3, first 2 shown]
	v_add_f32_e32 v32, v129, v31
	v_fma_f32 v32, -0.5, v32, v96
	v_add_f32_e32 v26, v96, v129
	v_mov_b32_e32 v34, v32
	v_add_f32_e32 v26, v26, v123
	v_fmac_f32_e32 v34, 0x3f737871, v29
	v_fmac_f32_e32 v32, 0xbf737871, v29
	v_add_f32_e32 v29, v118, v114
	v_add_f32_e32 v26, v26, v119
	v_sub_f32_e32 v33, v123, v129
	v_sub_f32_e32 v35, v119, v31
	v_fma_f32 v29, -0.5, v29, v97
	v_add_f32_e32 v26, v26, v31
	v_fmac_f32_e32 v34, 0xbf167918, v27
	v_add_f32_e32 v33, v33, v35
	v_fmac_f32_e32 v32, 0x3f167918, v27
	v_sub_f32_e32 v36, v129, v31
	v_mov_b32_e32 v31, v29
	v_fmac_f32_e32 v34, 0x3e9e377a, v33
	v_fmac_f32_e32 v32, 0x3e9e377a, v33
	;; [unrolled: 1-line block ×3, first 2 shown]
	v_sub_f32_e32 v37, v123, v119
	v_sub_f32_e32 v33, v122, v118
	;; [unrolled: 1-line block ×3, first 2 shown]
	v_fmac_f32_e32 v29, 0xbf737871, v36
	v_fmac_f32_e32 v31, 0x3f167918, v37
	v_add_f32_e32 v33, v33, v35
	v_fmac_f32_e32 v29, 0xbf167918, v37
	v_fmac_f32_e32 v31, 0x3e9e377a, v33
	;; [unrolled: 1-line block ×3, first 2 shown]
	v_add_f32_e32 v33, v122, v110
	v_fma_f32 v33, -0.5, v33, v97
	v_mov_b32_e32 v35, v33
	v_fmac_f32_e32 v35, 0xbf737871, v37
	v_sub_f32_e32 v38, v118, v122
	v_sub_f32_e32 v39, v114, v110
	v_fmac_f32_e32 v33, 0x3f737871, v37
	v_fmac_f32_e32 v35, 0x3f167918, v36
	v_add_f32_e32 v38, v38, v39
	v_fmac_f32_e32 v33, 0xbf167918, v36
	v_add_f32_e32 v37, v124, v121
	v_fmac_f32_e32 v35, 0x3e9e377a, v38
	v_fmac_f32_e32 v33, 0x3e9e377a, v38
	v_fma_f32 v38, -0.5, v37, v98
	v_sub_f32_e32 v37, v115, v112
	v_mov_b32_e32 v96, v38
	v_add_f32_e32 v27, v97, v122
	v_fmac_f32_e32 v96, 0xbf737871, v37
	v_sub_f32_e32 v39, v120, v116
	v_sub_f32_e32 v97, v111, v124
	;; [unrolled: 1-line block ×3, first 2 shown]
	v_fmac_f32_e32 v38, 0x3f737871, v37
	v_fmac_f32_e32 v96, 0xbf167918, v39
	v_add_f32_e32 v97, v97, v100
	v_fmac_f32_e32 v38, 0x3f167918, v39
	v_fmac_f32_e32 v96, 0x3e9e377a, v97
	;; [unrolled: 1-line block ×3, first 2 shown]
	v_add_f32_e32 v97, v111, v117
	v_add_f32_e32 v36, v98, v111
	v_fma_f32 v98, -0.5, v97, v98
	v_mov_b32_e32 v100, v98
	v_add_f32_e32 v9, v101, v105
	v_fmac_f32_e32 v100, 0x3f737871, v39
	v_sub_f32_e32 v97, v124, v111
	v_sub_f32_e32 v101, v121, v117
	v_fmac_f32_e32 v98, 0xbf737871, v39
	v_add_f32_e32 v39, v120, v116
	v_fmac_f32_e32 v100, 0xbf167918, v37
	v_add_f32_e32 v97, v97, v101
	v_fmac_f32_e32 v98, 0x3f167918, v37
	v_fma_f32 v39, -0.5, v39, v99
	v_fmac_f32_e32 v100, 0x3e9e377a, v97
	v_fmac_f32_e32 v98, 0x3e9e377a, v97
	v_sub_f32_e32 v104, v111, v117
	v_mov_b32_e32 v97, v39
	v_fmac_f32_e32 v97, 0x3f737871, v104
	v_sub_f32_e32 v105, v124, v121
	v_sub_f32_e32 v101, v115, v120
	;; [unrolled: 1-line block ×3, first 2 shown]
	v_fmac_f32_e32 v39, 0xbf737871, v104
	v_fmac_f32_e32 v97, 0x3f167918, v105
	v_add_f32_e32 v101, v101, v106
	v_fmac_f32_e32 v39, 0xbf167918, v105
	v_fmac_f32_e32 v97, 0x3e9e377a, v101
	;; [unrolled: 1-line block ×3, first 2 shown]
	v_add_f32_e32 v101, v115, v112
	v_add_f32_e32 v37, v99, v115
	v_fmac_f32_e32 v99, -0.5, v101
	v_add_f32_e32 v9, v9, v107
	v_mov_b32_e32 v101, v99
	v_add_f32_e32 v9, v9, v130
	v_add_f32_e32 v19, v19, v135
	;; [unrolled: 1-line block ×5, first 2 shown]
	v_fmac_f32_e32 v101, 0xbf737871, v105
	v_sub_f32_e32 v106, v120, v115
	v_sub_f32_e32 v107, v116, v112
	v_fmac_f32_e32 v99, 0x3f737871, v105
	v_add_f32_e32 v9, v9, v126
	v_add_f32_e32 v19, v19, v132
	;; [unrolled: 1-line block ×5, first 2 shown]
	v_fmac_f32_e32 v101, 0x3f167918, v104
	v_add_f32_e32 v106, v106, v107
	v_fmac_f32_e32 v99, 0xbf167918, v104
	v_add_f32_e32 v19, v19, v128
	v_add_f32_e32 v27, v27, v110
	;; [unrolled: 1-line block ×4, first 2 shown]
	v_fmac_f32_e32 v101, 0x3e9e377a, v106
	v_fmac_f32_e32 v99, 0x3e9e377a, v106
	s_waitcnt lgkmcnt(0)
	; wave barrier
	ds_write2_b64 v177, v[8:9], v[12:13] offset1:11
	ds_write2_b64 v177, v[16:17], v[14:15] offset0:22 offset1:33
	ds_write_b64 v177, v[10:11] offset:352
	ds_write2_b64 v178, v[18:19], v[22:23] offset1:11
	ds_write2_b64 v178, v[24:25], v[102:103] offset0:22 offset1:33
	ds_write_b64 v178, v[20:21] offset:352
	;; [unrolled: 3-line block ×4, first 2 shown]
	s_and_saveexec_b64 s[4:5], s[2:3]
	s_cbranch_execz .LBB0_21
; %bb.20:
	v_mul_f32_e32 v8, v7, v52
	v_mul_f32_e32 v10, v1, v54
	v_fma_f32 v9, v6, v53, -v8
	v_mul_f32_e32 v8, v5, v108
	v_fma_f32 v12, v0, v55, -v10
	;; [unrolled: 2-line block ×3, first 2 shown]
	v_fma_f32 v13, v2, v168, -v10
	v_mul_f32_e32 v14, v7, v53
	v_mul_f32_e32 v15, v1, v55
	v_add_f32_e32 v1, v11, v13
	v_mul_f32_e32 v16, v5, v109
	v_fmac_f32_e32 v14, v6, v52
	v_fmac_f32_e32 v15, v0, v54
	v_fma_f32 v1, -0.5, v1, v170
	v_fmac_f32_e32 v16, v4, v108
	v_mul_f32_e32 v4, v3, v168
	v_sub_f32_e32 v0, v14, v15
	v_mov_b32_e32 v6, v1
	v_fmac_f32_e32 v4, v2, v167
	v_sub_f32_e32 v3, v11, v9
	v_sub_f32_e32 v5, v13, v12
	;; [unrolled: 1-line block ×4, first 2 shown]
	v_fmac_f32_e32 v6, 0x3f737871, v0
	v_sub_f32_e32 v2, v16, v4
	v_fmac_f32_e32 v1, 0xbf737871, v0
	v_add_f32_e32 v5, v3, v5
	v_add_f32_e32 v3, v9, v12
	;; [unrolled: 1-line block ×3, first 2 shown]
	v_fmac_f32_e32 v6, 0xbf167918, v2
	v_fmac_f32_e32 v1, 0x3f167918, v2
	v_fma_f32 v3, -0.5, v3, v170
	v_fmac_f32_e32 v6, 0x3e9e377a, v8
	v_fmac_f32_e32 v1, 0x3e9e377a, v8
	v_mov_b32_e32 v8, v3
	v_fmac_f32_e32 v8, 0xbf737871, v2
	v_fmac_f32_e32 v3, 0x3f737871, v2
	;; [unrolled: 1-line block ×4, first 2 shown]
	v_add_f32_e32 v0, v170, v11
	v_add_f32_e32 v0, v0, v9
	;; [unrolled: 1-line block ×4, first 2 shown]
	v_sub_f32_e32 v0, v14, v16
	v_sub_f32_e32 v2, v15, v4
	v_add_f32_e32 v2, v0, v2
	v_add_f32_e32 v0, v16, v4
	v_fma_f32 v0, -0.5, v0, v169
	v_fmac_f32_e32 v8, 0x3e9e377a, v5
	v_fmac_f32_e32 v3, 0x3e9e377a, v5
	v_sub_f32_e32 v9, v9, v12
	v_mov_b32_e32 v5, v0
	v_sub_f32_e32 v11, v11, v13
	v_fmac_f32_e32 v5, 0xbf737871, v9
	v_fmac_f32_e32 v0, 0x3f737871, v9
	;; [unrolled: 1-line block ×6, first 2 shown]
	v_sub_f32_e32 v2, v16, v14
	v_sub_f32_e32 v7, v4, v15
	v_add_f32_e32 v12, v2, v7
	v_add_f32_e32 v2, v14, v15
	v_fma_f32 v2, -0.5, v2, v169
	v_mov_b32_e32 v7, v2
	v_fmac_f32_e32 v7, 0x3f737871, v11
	v_fmac_f32_e32 v2, 0xbf737871, v11
	;; [unrolled: 1-line block ×4, first 2 shown]
	v_add_f32_e32 v9, v169, v16
	v_add_f32_e32 v9, v9, v14
	;; [unrolled: 1-line block ×3, first 2 shown]
	v_fmac_f32_e32 v2, 0x3e9e377a, v12
	v_add_f32_e32 v9, v9, v4
	v_add_u32_e32 v4, 0x2000, v175
	v_fmac_f32_e32 v7, 0x3e9e377a, v12
	ds_write2_b64 v4, v[9:10], v[2:3] offset0:76 offset1:87
	ds_write2_b64 v4, v[0:1], v[5:6] offset0:98 offset1:109
	ds_write_b64 v175, v[7:8] offset:9152
.LBB0_21:
	s_or_b64 exec, exec, s[4:5]
	s_waitcnt lgkmcnt(0)
	; wave barrier
	s_waitcnt lgkmcnt(0)
	ds_read2_b64 v[6:9], v171 offset1:55
	ds_read2_b64 v[10:13], v171 offset0:110 offset1:165
	v_add_u32_e32 v3, 0x800, v171
	ds_read2_b64 v[14:17], v3 offset0:74 offset1:129
	ds_read2_b64 v[18:21], v3 offset0:184 offset1:239
	v_add_u32_e32 v4, 0x1000, v171
	ds_read2_b64 v[22:25], v4 offset0:148 offset1:203
	s_waitcnt lgkmcnt(3)
	v_mul_f32_e32 v101, v49, v13
	v_fmac_f32_e32 v101, v48, v12
	v_mul_f32_e32 v12, v49, v12
	v_add_u32_e32 v2, 0x1800, v171
	v_fma_f32 v12, v48, v13, -v12
	s_waitcnt lgkmcnt(2)
	v_mul_f32_e32 v13, v51, v15
	ds_read2_b64 v[26:29], v2 offset0:2 offset1:57
	v_fmac_f32_e32 v13, v50, v14
	v_mul_f32_e32 v14, v51, v14
	v_add_u32_e32 v100, 0x1c00, v171
	v_fma_f32 v14, v50, v15, -v14
	s_waitcnt lgkmcnt(2)
	v_mul_f32_e32 v15, v45, v21
	ds_read2_b64 v[30:33], v100 offset0:94 offset1:149
	v_fmac_f32_e32 v15, v44, v20
	v_mul_f32_e32 v20, v45, v20
	v_fma_f32 v20, v44, v21, -v20
	s_waitcnt lgkmcnt(2)
	v_mul_f32_e32 v21, v47, v23
	v_fmac_f32_e32 v21, v46, v22
	v_mul_f32_e32 v22, v47, v22
	v_fma_f32 v22, v46, v23, -v22
	s_waitcnt lgkmcnt(1)
	v_mul_f32_e32 v23, v41, v29
	v_add_u32_e32 v5, 0x400, v171
	v_fmac_f32_e32 v23, v40, v28
	v_mul_f32_e32 v28, v41, v28
	ds_read2_b64 v[34:37], v5 offset0:92 offset1:147
	ds_read2_b64 v[52:55], v4 offset0:38 offset1:93
	;; [unrolled: 1-line block ×3, first 2 shown]
	ds_read_b64 v[38:39], v171 offset:8800
	v_fma_f32 v28, v40, v29, -v28
	s_waitcnt lgkmcnt(4)
	v_mul_f32_e32 v29, v43, v31
	v_fmac_f32_e32 v29, v42, v30
	v_mul_f32_e32 v30, v43, v30
	v_fma_f32 v30, v42, v31, -v30
	s_waitcnt lgkmcnt(3)
	v_mul_f32_e32 v31, v49, v35
	v_fmac_f32_e32 v31, v48, v34
	v_mul_f32_e32 v34, v49, v34
	v_fma_f32 v34, v48, v35, -v34
	v_mul_f32_e32 v35, v51, v17
	v_fmac_f32_e32 v35, v50, v16
	v_mul_f32_e32 v16, v51, v16
	v_fma_f32 v48, v50, v17, -v16
	s_waitcnt lgkmcnt(2)
	v_mul_f32_e32 v49, v45, v53
	v_mul_f32_e32 v16, v45, v52
	v_fmac_f32_e32 v49, v44, v52
	v_fma_f32 v44, v44, v53, -v16
	v_mul_f32_e32 v45, v47, v25
	v_mul_f32_e32 v16, v47, v24
	v_fmac_f32_e32 v45, v46, v24
	v_fma_f32 v24, v46, v25, -v16
	s_waitcnt lgkmcnt(1)
	v_mul_f32_e32 v25, v41, v97
	v_mul_f32_e32 v16, v41, v96
	v_fmac_f32_e32 v25, v40, v96
	v_fma_f32 v40, v40, v97, -v16
	v_mul_f32_e32 v41, v43, v33
	v_mul_f32_e32 v16, v43, v32
	v_fmac_f32_e32 v41, v42, v32
	v_fma_f32 v32, v42, v33, -v16
	;; [unrolled: 4-line block ×3, first 2 shown]
	v_mul_f32_e32 v16, v67, v18
	v_fma_f32 v43, v66, v19, -v16
	v_mul_f32_e32 v16, v61, v54
	v_fma_f32 v47, v60, v55, -v16
	v_mul_f32_e32 v16, v63, v26
	v_mul_f32_e32 v46, v61, v55
	v_fma_f32 v51, v62, v27, -v16
	v_mul_f32_e32 v16, v57, v98
	v_fmac_f32_e32 v46, v60, v54
	v_fma_f32 v53, v56, v99, -v16
	s_waitcnt lgkmcnt(0)
	v_mul_f32_e32 v54, v59, v39
	v_mul_f32_e32 v16, v59, v38
	;; [unrolled: 1-line block ×4, first 2 shown]
	v_fmac_f32_e32 v54, v58, v38
	v_fma_f32 v38, v58, v39, -v16
	v_add_f32_e32 v16, v101, v29
	v_add_f32_e32 v19, v13, v23
	v_fmac_f32_e32 v50, v62, v26
	v_add_f32_e32 v17, v12, v30
	v_add_f32_e32 v26, v14, v28
	v_sub_f32_e32 v13, v13, v23
	v_add_f32_e32 v23, v15, v21
	v_sub_f32_e32 v15, v21, v15
	v_add_f32_e32 v21, v19, v16
	v_add_f32_e32 v27, v20, v22
	v_sub_f32_e32 v20, v22, v20
	v_add_f32_e32 v22, v26, v17
	v_add_f32_e32 v21, v23, v21
	v_mul_f32_e32 v52, v57, v99
	v_add_f32_e32 v22, v27, v22
	v_add_f32_e32 v6, v6, v21
	v_mad_u64_u32 v[0:1], s[2:3], s14, v158, 0
	v_fmac_f32_e32 v37, v66, v18
	v_fmac_f32_e32 v52, v56, v98
	v_sub_f32_e32 v18, v101, v29
	v_sub_f32_e32 v12, v12, v30
	;; [unrolled: 1-line block ×9, first 2 shown]
	v_add_f32_e32 v30, v15, v13
	v_sub_f32_e32 v39, v15, v13
	v_add_f32_e32 v7, v7, v22
	v_mov_b32_e32 v56, v6
	v_add_f32_e32 v33, v20, v14
	v_sub_f32_e32 v55, v20, v14
	v_sub_f32_e32 v15, v18, v15
	;; [unrolled: 1-line block ×4, first 2 shown]
	v_add_f32_e32 v18, v30, v18
	v_mul_f32_e32 v16, 0x3f4a47b2, v16
	v_mul_f32_e32 v17, 0x3f4a47b2, v17
	;; [unrolled: 1-line block ×5, first 2 shown]
	s_mov_b32 s2, 0xbf5ff5aa
	v_fmac_f32_e32 v56, 0xbf955555, v21
	v_mov_b32_e32 v21, v7
	s_mov_b32 s3, 0x3f3bfb3b
	s_mov_b32 s4, 0xbf3bfb3b
	v_sub_f32_e32 v20, v12, v20
	v_add_f32_e32 v12, v33, v12
	v_mul_f32_e32 v33, 0x3f08b237, v55
	v_mul_f32_e32 v55, 0xbf5ff5aa, v14
	v_fmac_f32_e32 v21, 0xbf955555, v22
	v_fma_f32 v22, v28, s3, -v23
	v_fma_f32 v23, v29, s3, -v27
	;; [unrolled: 1-line block ×3, first 2 shown]
	v_fmac_f32_e32 v16, 0x3d64c772, v19
	v_fma_f32 v19, v29, s4, -v17
	v_fmac_f32_e32 v17, 0x3d64c772, v26
	v_fma_f32 v26, v13, s2, -v30
	v_fmac_f32_e32 v30, 0xbeae86e6, v15
	s_mov_b32 s5, 0x3eae86e6
	v_mul_f32_e32 v39, 0xbf5ff5aa, v13
	v_fma_f32 v28, v14, s2, -v33
	v_fmac_f32_e32 v33, 0xbeae86e6, v20
	v_fma_f32 v20, v20, s5, -v55
	v_add_f32_e32 v55, v17, v21
	v_add_f32_e32 v23, v23, v21
	v_fmac_f32_e32 v30, 0xbee1c552, v18
	v_fmac_f32_e32 v26, 0xbee1c552, v18
	v_fma_f32 v29, v15, s5, -v39
	v_add_f32_e32 v39, v16, v56
	v_add_f32_e32 v22, v22, v56
	;; [unrolled: 1-line block ×4, first 2 shown]
	v_fmac_f32_e32 v33, 0xbee1c552, v12
	v_fmac_f32_e32 v28, 0xbee1c552, v12
	v_fmac_f32_e32 v20, 0xbee1c552, v12
	v_sub_f32_e32 v13, v55, v30
	v_add_f32_e32 v17, v26, v23
	v_sub_f32_e32 v19, v23, v26
	v_add_f32_e32 v23, v30, v55
	v_add_f32_e32 v26, v31, v41
	;; [unrolled: 1-line block ×3, first 2 shown]
	v_fmac_f32_e32 v29, 0xbee1c552, v18
	v_add_f32_e32 v12, v33, v39
	v_add_f32_e32 v14, v20, v27
	v_sub_f32_e32 v16, v22, v28
	v_add_f32_e32 v18, v28, v22
	v_sub_f32_e32 v20, v27, v20
	v_sub_f32_e32 v22, v39, v33
	v_add_f32_e32 v27, v34, v32
	v_sub_f32_e32 v28, v31, v41
	v_add_f32_e32 v31, v48, v40
	v_add_f32_e32 v33, v49, v45
	;; [unrolled: 1-line block ×3, first 2 shown]
	v_sub_f32_e32 v15, v21, v29
	v_add_f32_e32 v21, v29, v21
	v_sub_f32_e32 v29, v34, v32
	v_sub_f32_e32 v32, v48, v40
	v_add_f32_e32 v34, v44, v24
	v_add_f32_e32 v40, v31, v27
	v_sub_f32_e32 v41, v30, v26
	v_sub_f32_e32 v26, v26, v33
	;; [unrolled: 1-line block ×3, first 2 shown]
	v_add_f32_e32 v33, v33, v39
	v_sub_f32_e32 v25, v35, v25
	v_sub_f32_e32 v35, v45, v49
	;; [unrolled: 1-line block ×6, first 2 shown]
	v_add_f32_e32 v34, v34, v40
	v_add_f32_e32 v8, v8, v33
	;; [unrolled: 1-line block ×4, first 2 shown]
	v_sub_f32_e32 v49, v35, v25
	v_sub_f32_e32 v55, v24, v32
	;; [unrolled: 1-line block ×3, first 2 shown]
	v_add_f32_e32 v9, v9, v34
	v_mov_b32_e32 v56, v8
	v_sub_f32_e32 v35, v28, v35
	v_sub_f32_e32 v24, v29, v24
	;; [unrolled: 1-line block ×3, first 2 shown]
	v_add_f32_e32 v28, v45, v28
	v_add_f32_e32 v29, v48, v29
	v_mul_f32_e32 v26, 0x3f4a47b2, v26
	v_mul_f32_e32 v27, 0x3f4a47b2, v27
	;; [unrolled: 1-line block ×7, first 2 shown]
	v_fmac_f32_e32 v56, 0xbf955555, v33
	v_mov_b32_e32 v33, v9
	v_mul_f32_e32 v49, 0xbf5ff5aa, v25
	v_fmac_f32_e32 v33, 0xbf955555, v34
	v_fma_f32 v34, v41, s3, -v39
	v_fma_f32 v39, v44, s3, -v40
	;; [unrolled: 1-line block ×3, first 2 shown]
	v_fmac_f32_e32 v26, 0x3d64c772, v30
	v_fma_f32 v30, v44, s4, -v27
	v_fmac_f32_e32 v27, 0x3d64c772, v31
	v_fma_f32 v31, v25, s2, -v45
	v_fma_f32 v32, v32, s2, -v48
	;; [unrolled: 1-line block ×3, first 2 shown]
	v_fmac_f32_e32 v45, 0xbeae86e6, v35
	v_fmac_f32_e32 v48, 0xbeae86e6, v24
	v_fma_f32 v35, v35, s5, -v49
	v_add_f32_e32 v34, v34, v56
	v_add_f32_e32 v39, v39, v33
	;; [unrolled: 1-line block ×3, first 2 shown]
	v_fmac_f32_e32 v31, 0xbee1c552, v28
	v_fmac_f32_e32 v32, 0xbee1c552, v29
	;; [unrolled: 1-line block ×3, first 2 shown]
	v_add_f32_e32 v44, v26, v56
	v_add_f32_e32 v49, v27, v33
	v_add_f32_e32 v33, v30, v33
	v_fmac_f32_e32 v45, 0xbee1c552, v28
	v_fmac_f32_e32 v48, 0xbee1c552, v29
	v_fmac_f32_e32 v35, 0xbee1c552, v28
	v_add_f32_e32 v26, v41, v40
	v_sub_f32_e32 v28, v34, v32
	v_add_f32_e32 v29, v31, v39
	v_add_f32_e32 v30, v32, v34
	v_sub_f32_e32 v31, v39, v31
	v_sub_f32_e32 v32, v40, v41
	v_add_f32_e32 v39, v42, v54
	v_add_f32_e32 v40, v36, v38
	v_sub_f32_e32 v36, v36, v38
	v_add_f32_e32 v38, v37, v52
	v_add_f32_e32 v24, v48, v44
	v_sub_f32_e32 v34, v44, v48
	v_sub_f32_e32 v41, v42, v54
	v_add_f32_e32 v42, v43, v53
	v_add_f32_e32 v44, v46, v50
	;; [unrolled: 1-line block ×3, first 2 shown]
	v_sub_f32_e32 v25, v49, v45
	v_sub_f32_e32 v27, v33, v35
	v_add_f32_e32 v33, v35, v33
	v_add_f32_e32 v35, v45, v49
	;; [unrolled: 1-line block ×3, first 2 shown]
	v_sub_f32_e32 v46, v50, v46
	v_add_f32_e32 v49, v42, v40
	v_sub_f32_e32 v50, v38, v39
	v_sub_f32_e32 v39, v39, v44
	;; [unrolled: 1-line block ×3, first 2 shown]
	v_add_f32_e32 v44, v44, v48
	v_sub_f32_e32 v37, v37, v52
	v_sub_f32_e32 v43, v43, v53
	;; [unrolled: 1-line block ×6, first 2 shown]
	v_add_f32_e32 v45, v45, v49
	v_add_f32_e32 v10, v10, v44
	v_add_f32_e32 v52, v46, v37
	v_add_f32_e32 v53, v47, v43
	v_sub_f32_e32 v54, v46, v37
	v_sub_f32_e32 v55, v47, v43
	v_add_f32_e32 v11, v11, v45
	v_mov_b32_e32 v56, v10
	v_sub_f32_e32 v46, v41, v46
	v_sub_f32_e32 v47, v36, v47
	;; [unrolled: 1-line block ×4, first 2 shown]
	v_add_f32_e32 v41, v52, v41
	v_add_f32_e32 v36, v53, v36
	v_mul_f32_e32 v39, 0x3f4a47b2, v39
	v_mul_f32_e32 v40, 0x3f4a47b2, v40
	v_mul_f32_e32 v48, 0x3d64c772, v38
	v_mul_f32_e32 v49, 0x3d64c772, v42
	v_mul_f32_e32 v52, 0x3f08b237, v54
	v_mul_f32_e32 v53, 0x3f08b237, v55
	v_fmac_f32_e32 v56, 0xbf955555, v44
	v_mov_b32_e32 v44, v11
	v_mul_f32_e32 v54, 0xbf5ff5aa, v37
	v_mul_f32_e32 v55, 0xbf5ff5aa, v43
	v_fmac_f32_e32 v44, 0xbf955555, v45
	v_fma_f32 v45, v50, s3, -v48
	v_fma_f32 v48, v51, s3, -v49
	v_fma_f32 v49, v50, s4, -v39
	v_fmac_f32_e32 v39, 0x3d64c772, v38
	v_fma_f32 v38, v51, s4, -v40
	v_fmac_f32_e32 v40, 0x3d64c772, v42
	v_fma_f32 v50, v37, s2, -v52
	;; [unrolled: 2-line block ×4, first 2 shown]
	v_fma_f32 v47, v47, s5, -v55
	v_add_f32_e32 v51, v39, v56
	v_add_f32_e32 v54, v40, v44
	v_fmac_f32_e32 v52, 0xbee1c552, v41
	v_fmac_f32_e32 v53, 0xbee1c552, v36
	v_add_f32_e32 v43, v45, v56
	v_add_f32_e32 v45, v48, v44
	;; [unrolled: 1-line block ×4, first 2 shown]
	v_fmac_f32_e32 v50, 0xbee1c552, v41
	v_fmac_f32_e32 v42, 0xbee1c552, v36
	;; [unrolled: 1-line block ×4, first 2 shown]
	v_add_f32_e32 v36, v53, v51
	v_sub_f32_e32 v37, v54, v52
	s_waitcnt lgkmcnt(0)
	; wave barrier
	ds_write2_b64 v171, v[6:7], v[12:13] offset1:55
	ds_write2_b64 v171, v[14:15], v[16:17] offset0:110 offset1:165
	ds_write2_b64 v5, v[18:19], v[20:21] offset0:92 offset1:147
	;; [unrolled: 1-line block ×6, first 2 shown]
	v_add_u32_e32 v6, 0x1800, v176
	v_add_f32_e32 v38, v47, v48
	v_sub_f32_e32 v39, v49, v46
	v_sub_f32_e32 v40, v43, v42
	v_add_f32_e32 v41, v50, v45
	v_add_f32_e32 v42, v42, v43
	v_sub_f32_e32 v43, v45, v50
	v_sub_f32_e32 v44, v48, v47
	v_add_f32_e32 v45, v46, v49
	v_sub_f32_e32 v46, v51, v53
	v_add_f32_e32 v47, v52, v54
	ds_write2_b64 v6, v[10:11], v[36:37] offset0:2 offset1:57
	ds_write2_b64 v6, v[38:39], v[40:41] offset0:112 offset1:167
	v_add_u32_e32 v6, 0x1c00, v176
	ds_write2_b64 v6, v[42:43], v[44:45] offset0:94 offset1:149
	ds_write_b64 v176, v[46:47] offset:8800
	s_waitcnt lgkmcnt(0)
	; wave barrier
	s_waitcnt lgkmcnt(0)
	ds_read2_b64 v[6:9], v171 offset1:55
	ds_read2_b64 v[10:13], v3 offset0:74 offset1:129
	ds_read2_b64 v[14:17], v2 offset0:2 offset1:57
	ds_read2_b64 v[18:21], v3 offset0:184 offset1:239
	ds_read2_b64 v[22:25], v171 offset0:110 offset1:165
	ds_read2_b64 v[26:29], v2 offset0:112 offset1:167
	ds_read2_b64 v[30:33], v4 offset0:38 offset1:93
	ds_read2_b64 v[34:37], v5 offset0:92 offset1:147
	ds_read2_b64 v[38:41], v100 offset0:94 offset1:149
	ds_read2_b64 v[42:45], v4 offset0:148 offset1:203
	ds_read_b64 v[46:47], v171 offset:8800
	s_waitcnt lgkmcnt(9)
	v_mul_f32_e32 v48, v69, v13
	v_fmac_f32_e32 v48, v68, v12
	v_mul_f32_e32 v12, v69, v12
	v_fma_f32 v49, v68, v13, -v12
	s_waitcnt lgkmcnt(8)
	v_mul_f32_e32 v12, v71, v14
	v_mul_f32_e32 v50, v71, v15
	v_fma_f32 v15, v70, v15, -v12
	s_waitcnt lgkmcnt(7)
	v_mul_f32_e32 v12, v73, v18
	v_mul_f32_e32 v51, v73, v19
	v_fma_f32 v19, v72, v19, -v12
	v_mul_f32_e32 v12, v75, v16
	v_fma_f32 v53, v74, v17, -v12
	;; [unrolled: 2-line block ×3, first 2 shown]
	s_waitcnt lgkmcnt(5)
	v_mul_f32_e32 v12, v79, v26
	v_mul_f32_e32 v56, v79, v27
	v_fma_f32 v27, v78, v27, -v12
	s_waitcnt lgkmcnt(4)
	v_mul_f32_e32 v12, v81, v30
	v_mul_f32_e32 v57, v81, v31
	v_fma_f32 v31, v80, v31, -v12
	v_mul_f32_e32 v12, v83, v28
	v_fma_f32 v59, v82, v29, -v12
	;; [unrolled: 2-line block ×3, first 2 shown]
	s_waitcnt lgkmcnt(2)
	v_mul_f32_e32 v12, v87, v38
	v_mul_f32_e32 v62, v87, v39
	v_fma_f32 v39, v86, v39, -v12
	s_waitcnt lgkmcnt(1)
	v_mul_f32_e32 v12, v89, v42
	v_mul_f32_e32 v63, v89, v43
	v_fma_f32 v43, v88, v43, -v12
	v_mul_f32_e32 v12, v91, v40
	v_fmac_f32_e32 v50, v70, v14
	v_fma_f32 v65, v90, v41, -v12
	v_mul_f32_e32 v12, v93, v44
	v_fma_f32 v67, v92, v45, -v12
	s_waitcnt lgkmcnt(0)
	v_mul_f32_e32 v12, v95, v46
	v_add_f32_e32 v13, v48, v50
	v_mul_f32_e32 v68, v95, v47
	v_fma_f32 v47, v94, v47, -v12
	v_add_f32_e32 v12, v6, v48
	v_fma_f32 v6, -0.5, v13, v6
	v_sub_f32_e32 v13, v49, v15
	v_mov_b32_e32 v14, v6
	v_fmac_f32_e32 v14, 0xbf5db3d7, v13
	v_fmac_f32_e32 v6, 0x3f5db3d7, v13
	v_add_f32_e32 v13, v7, v49
	v_mul_f32_e32 v52, v75, v17
	v_add_f32_e32 v13, v13, v15
	v_add_f32_e32 v15, v49, v15
	v_fmac_f32_e32 v51, v72, v18
	v_fmac_f32_e32 v52, v74, v16
	v_fma_f32 v7, -0.5, v15, v7
	v_sub_f32_e32 v16, v48, v50
	v_mov_b32_e32 v15, v7
	v_add_f32_e32 v17, v51, v52
	v_fmac_f32_e32 v15, 0x3f5db3d7, v16
	v_fmac_f32_e32 v7, 0xbf5db3d7, v16
	v_add_f32_e32 v16, v8, v51
	v_fma_f32 v8, -0.5, v17, v8
	v_sub_f32_e32 v17, v19, v53
	v_mov_b32_e32 v18, v8
	v_mul_f32_e32 v54, v77, v21
	v_fmac_f32_e32 v18, 0xbf5db3d7, v17
	v_fmac_f32_e32 v8, 0x3f5db3d7, v17
	v_add_f32_e32 v17, v9, v19
	v_add_f32_e32 v19, v19, v53
	v_fmac_f32_e32 v54, v76, v20
	v_fmac_f32_e32 v56, v78, v26
	v_fmac_f32_e32 v9, -0.5, v19
	v_sub_f32_e32 v20, v51, v52
	v_mov_b32_e32 v19, v9
	v_add_f32_e32 v21, v54, v56
	v_fmac_f32_e32 v19, 0x3f5db3d7, v20
	v_fmac_f32_e32 v9, 0xbf5db3d7, v20
	v_add_f32_e32 v20, v22, v54
	v_fma_f32 v22, -0.5, v21, v22
	v_sub_f32_e32 v21, v55, v27
	v_mov_b32_e32 v26, v22
	v_fmac_f32_e32 v26, 0xbf5db3d7, v21
	v_fmac_f32_e32 v22, 0x3f5db3d7, v21
	v_add_f32_e32 v21, v23, v55
	v_mul_f32_e32 v58, v83, v29
	v_add_f32_e32 v21, v21, v27
	v_add_f32_e32 v27, v55, v27
	v_fmac_f32_e32 v57, v80, v30
	v_fmac_f32_e32 v58, v82, v28
	v_fma_f32 v23, -0.5, v27, v23
	v_sub_f32_e32 v28, v54, v56
	v_mov_b32_e32 v27, v23
	v_add_f32_e32 v29, v57, v58
	v_fmac_f32_e32 v27, 0x3f5db3d7, v28
	v_fmac_f32_e32 v23, 0xbf5db3d7, v28
	v_add_f32_e32 v28, v24, v57
	v_fma_f32 v24, -0.5, v29, v24
	v_sub_f32_e32 v29, v31, v59
	v_mov_b32_e32 v30, v24
	v_mul_f32_e32 v60, v85, v33
	v_fmac_f32_e32 v30, 0xbf5db3d7, v29
	v_fmac_f32_e32 v24, 0x3f5db3d7, v29
	v_add_f32_e32 v29, v25, v31
	v_add_f32_e32 v31, v31, v59
	v_fmac_f32_e32 v60, v84, v32
	v_fmac_f32_e32 v62, v86, v38
	v_fmac_f32_e32 v25, -0.5, v31
	v_sub_f32_e32 v32, v57, v58
	v_mov_b32_e32 v31, v25
	v_add_f32_e32 v33, v60, v62
	v_fmac_f32_e32 v31, 0x3f5db3d7, v32
	v_fmac_f32_e32 v25, 0xbf5db3d7, v32
	;; [unrolled: 35-line block ×3, first 2 shown]
	v_add_f32_e32 v44, v10, v66
	v_fma_f32 v10, -0.5, v45, v10
	v_sub_f32_e32 v45, v67, v47
	v_mov_b32_e32 v46, v10
	v_fmac_f32_e32 v46, 0xbf5db3d7, v45
	v_fmac_f32_e32 v10, 0x3f5db3d7, v45
	v_add_f32_e32 v45, v11, v67
	v_add_f32_e32 v45, v45, v47
	;; [unrolled: 1-line block ×6, first 2 shown]
	v_fmac_f32_e32 v11, -0.5, v47
	v_sub_f32_e32 v48, v66, v68
	v_add_f32_e32 v20, v20, v56
	v_add_f32_e32 v28, v28, v58
	;; [unrolled: 1-line block ×3, first 2 shown]
	v_mov_b32_e32 v47, v11
	v_fmac_f32_e32 v11, 0xbf5db3d7, v48
	ds_write2_b64 v171, v[12:13], v[16:17] offset1:55
	ds_write2_b64 v3, v[14:15], v[18:19] offset0:129 offset1:184
	ds_write2_b64 v2, v[6:7], v[8:9] offset0:2 offset1:57
	;; [unrolled: 1-line block ×3, first 2 shown]
	v_add_u32_e32 v6, 0xc00, v171
	v_add_u32_e32 v7, 0x2000, v171
	v_add_f32_e32 v32, v32, v62
	v_add_f32_e32 v40, v40, v64
	;; [unrolled: 1-line block ×4, first 2 shown]
	v_fmac_f32_e32 v47, 0x3f5db3d7, v48
	ds_write2_b64 v6, v[26:27], v[30:31] offset0:111 offset1:166
	ds_write2_b64 v2, v[22:23], v[24:25] offset0:112 offset1:167
	ds_write_b64 v171, v[34:35] offset:7920
	ds_write2_b64 v5, v[32:33], v[40:41] offset0:92 offset1:147
	ds_write2_b64 v4, v[38:39], v[42:43] offset0:93 offset1:148
	ds_write_b64 v171, v[44:45] offset:2640
	ds_write_b64 v171, v[46:47] offset:5720
	ds_write2_b64 v7, v[36:37], v[10:11] offset0:21 offset1:76
	s_waitcnt lgkmcnt(0)
	; wave barrier
	s_waitcnt lgkmcnt(0)
	ds_read2_b64 v[7:10], v171 offset1:105
	v_mad_u64_u32 v[11:12], s[2:3], s15, v158, v[1:2]
	s_mov_b32 s2, 0x33a4aea8
	s_mov_b32 s3, 0x3f4c5edd
	s_waitcnt lgkmcnt(0)
	v_mul_f32_e32 v1, v166, v8
	v_fmac_f32_e32 v1, v165, v7
	v_cvt_f64_f32_e32 v[12:13], v1
	v_mul_f32_e32 v1, v166, v7
	v_fma_f32 v1, v165, v8, -v1
	v_cvt_f64_f32_e32 v[7:8], v1
	v_mul_f64 v[12:13], v[12:13], s[2:3]
	v_mad_u64_u32 v[14:15], s[4:5], s12, v172, 0
	v_mul_f64 v[7:8], v[7:8], s[2:3]
	v_mov_b32_e32 v1, v11
	v_mov_b32_e32 v11, v15
	v_lshlrev_b64 v[0:1], 3, v[0:1]
	s_movk_i32 s7, 0x1000
	v_mad_u64_u32 v[15:16], s[4:5], s13, v172, v[11:12]
	v_cvt_f32_f64_e32 v11, v[12:13]
	v_cvt_f32_f64_e32 v12, v[7:8]
	v_mul_f32_e32 v7, v164, v10
	v_fmac_f32_e32 v7, v163, v9
	v_cvt_f64_f32_e32 v[7:8], v7
	v_mul_f32_e32 v9, v164, v9
	v_fma_f32 v9, v163, v10, -v9
	v_mov_b32_e32 v13, s11
	v_cvt_f64_f32_e32 v[9:10], v9
	v_add_co_u32_e32 v16, vcc, s10, v0
	v_addc_co_u32_e32 v17, vcc, v13, v1, vcc
	v_mul_f64 v[0:1], v[7:8], s[2:3]
	v_lshlrev_b64 v[7:8], 3, v[14:15]
	v_mul_f64 v[13:14], v[9:10], s[2:3]
	v_add_co_u32_e32 v15, vcc, v16, v7
	v_addc_co_u32_e32 v16, vcc, v17, v8, vcc
	ds_read2_b64 v[7:10], v5 offset0:82 offset1:187
	global_store_dwordx2 v[15:16], v[11:12], off
	s_mul_i32 s4, s13, 0x69
	s_mul_hi_u32 s5, s12, 0x69
	v_cvt_f32_f64_e32 v0, v[0:1]
	s_waitcnt lgkmcnt(0)
	v_mul_f32_e32 v5, v162, v8
	v_fmac_f32_e32 v5, v161, v7
	v_cvt_f64_f32_e32 v[11:12], v5
	v_mul_f32_e32 v5, v162, v7
	v_fma_f32 v5, v161, v8, -v5
	v_cvt_f64_f32_e32 v[7:8], v5
	v_mul_f64 v[11:12], v[11:12], s[2:3]
	v_cvt_f32_f64_e32 v1, v[13:14]
	s_add_i32 s5, s5, s4
	v_mul_f64 v[7:8], v[7:8], s[2:3]
	s_mul_i32 s4, s12, 0x69
	s_lshl_b64 s[4:5], s[4:5], 3
	v_mov_b32_e32 v19, s5
	v_add_co_u32_e32 v13, vcc, s4, v15
	v_mul_f32_e32 v5, v157, v10
	v_addc_co_u32_e32 v14, vcc, v16, v19, vcc
	v_fmac_f32_e32 v5, v156, v9
	global_store_dwordx2 v[13:14], v[0:1], off
	v_cvt_f32_f64_e32 v0, v[11:12]
	v_cvt_f64_f32_e32 v[11:12], v5
	v_mul_f32_e32 v5, v157, v9
	v_cvt_f32_f64_e32 v1, v[7:8]
	v_fma_f32 v5, v156, v10, -v5
	ds_read2_b64 v[7:10], v6 offset0:36 offset1:141
	v_cvt_f64_f32_e32 v[15:16], v5
	v_mul_f64 v[11:12], v[11:12], s[2:3]
	v_add_co_u32_e32 v13, vcc, s4, v13
	s_waitcnt lgkmcnt(0)
	v_mul_f32_e32 v5, v155, v8
	v_fmac_f32_e32 v5, v154, v7
	v_cvt_f64_f32_e32 v[17:18], v5
	v_mul_f32_e32 v5, v155, v7
	v_mul_f64 v[15:16], v[15:16], s[2:3]
	v_fma_f32 v5, v154, v8, -v5
	v_cvt_f64_f32_e32 v[7:8], v5
	v_addc_co_u32_e32 v14, vcc, v14, v19, vcc
	global_store_dwordx2 v[13:14], v[0:1], off
	v_cvt_f32_f64_e32 v0, v[11:12]
	v_mul_f64 v[11:12], v[17:18], s[2:3]
	v_mul_f64 v[7:8], v[7:8], s[2:3]
	v_cvt_f32_f64_e32 v1, v[15:16]
	v_add_co_u32_e32 v13, vcc, s4, v13
	v_mul_f32_e32 v5, v153, v10
	v_addc_co_u32_e32 v14, vcc, v14, v19, vcc
	v_fmac_f32_e32 v5, v152, v9
	global_store_dwordx2 v[13:14], v[0:1], off
	v_cvt_f32_f64_e32 v0, v[11:12]
	v_cvt_f64_f32_e32 v[11:12], v5
	v_mul_f32_e32 v5, v153, v9
	v_cvt_f32_f64_e32 v1, v[7:8]
	v_fma_f32 v5, v152, v10, -v5
	ds_read2_b64 v[7:10], v4 offset0:118 offset1:223
	v_cvt_f64_f32_e32 v[15:16], v5
	v_add_co_u32_e32 v4, vcc, s4, v13
	v_addc_co_u32_e32 v5, vcc, v14, v19, vcc
	v_mul_f64 v[13:14], v[15:16], s[2:3]
	s_waitcnt lgkmcnt(0)
	v_mul_f32_e32 v15, v160, v8
	v_mul_f64 v[11:12], v[11:12], s[2:3]
	v_fmac_f32_e32 v15, v159, v7
	v_mul_f32_e32 v7, v160, v7
	v_fma_f32 v7, v159, v8, -v7
	v_cvt_f64_f32_e32 v[7:8], v7
	v_cvt_f64_f32_e32 v[15:16], v15
	global_store_dwordx2 v[4:5], v[0:1], off
	v_cvt_f32_f64_e32 v1, v[13:14]
	v_mul_f64 v[7:8], v[7:8], s[2:3]
	v_cvt_f32_f64_e32 v0, v[11:12]
	v_mul_f64 v[11:12], v[15:16], s[2:3]
	v_add_co_u32_e32 v4, vcc, s4, v4
	v_addc_co_u32_e32 v5, vcc, v5, v19, vcc
	global_store_dwordx2 v[4:5], v[0:1], off
	v_cvt_f32_f64_e32 v1, v[7:8]
	v_mul_f32_e32 v7, v151, v10
	v_fmac_f32_e32 v7, v150, v9
	v_cvt_f32_f64_e32 v0, v[11:12]
	v_cvt_f64_f32_e32 v[11:12], v7
	v_mul_f32_e32 v7, v151, v9
	v_fma_f32 v7, v150, v10, -v7
	v_cvt_f64_f32_e32 v[13:14], v7
	ds_read2_b64 v[7:10], v2 offset0:72 offset1:177
	v_mul_f64 v[11:12], v[11:12], s[2:3]
	v_add_co_u32_e32 v4, vcc, s4, v4
	v_mul_f64 v[13:14], v[13:14], s[2:3]
	s_waitcnt lgkmcnt(0)
	v_mul_f32_e32 v15, v149, v8
	v_fmac_f32_e32 v15, v148, v7
	v_mul_f32_e32 v7, v149, v7
	v_fma_f32 v7, v148, v8, -v7
	v_cvt_f64_f32_e32 v[7:8], v7
	v_cvt_f64_f32_e32 v[15:16], v15
	v_addc_co_u32_e32 v5, vcc, v5, v19, vcc
	v_mul_f64 v[7:8], v[7:8], s[2:3]
	global_store_dwordx2 v[4:5], v[0:1], off
	v_cvt_f32_f64_e32 v0, v[11:12]
	v_mul_f64 v[11:12], v[15:16], s[2:3]
	v_cvt_f32_f64_e32 v1, v[13:14]
	v_add_co_u32_e32 v4, vcc, s4, v4
	v_addc_co_u32_e32 v5, vcc, v5, v19, vcc
	global_store_dwordx2 v[4:5], v[0:1], off
	v_cvt_f32_f64_e32 v1, v[7:8]
	v_mul_f32_e32 v7, v147, v10
	v_fmac_f32_e32 v7, v146, v9
	v_cvt_f32_f64_e32 v0, v[11:12]
	v_cvt_f64_f32_e32 v[7:8], v7
	ds_read_b64 v[11:12], v171 offset:8400
	v_mul_f32_e32 v9, v147, v9
	v_fma_f32 v9, v146, v10, -v9
	v_mul_f64 v[7:8], v[7:8], s[2:3]
	v_cvt_f64_f32_e32 v[9:10], v9
	s_waitcnt lgkmcnt(0)
	v_mul_f32_e32 v13, v145, v12
	v_fmac_f32_e32 v13, v144, v11
	v_mul_f32_e32 v11, v145, v11
	v_fma_f32 v11, v144, v12, -v11
	v_cvt_f64_f32_e32 v[13:14], v13
	v_cvt_f64_f32_e32 v[11:12], v11
	v_add_co_u32_e32 v4, vcc, s4, v4
	v_mul_f64 v[9:10], v[9:10], s[2:3]
	v_addc_co_u32_e32 v5, vcc, v5, v19, vcc
	global_store_dwordx2 v[4:5], v[0:1], off
	v_cvt_f32_f64_e32 v0, v[7:8]
	v_mul_f64 v[7:8], v[13:14], s[2:3]
	v_mul_f64 v[11:12], v[11:12], s[2:3]
	v_add_co_u32_e32 v4, vcc, s4, v4
	v_cvt_f32_f64_e32 v1, v[9:10]
	v_addc_co_u32_e32 v5, vcc, v5, v19, vcc
	s_movk_i32 s6, 0x2000
	v_cvt_f32_f64_e32 v7, v[7:8]
	v_cvt_f32_f64_e32 v8, v[11:12]
	global_store_dwordx2 v[4:5], v[0:1], off
	v_add_co_u32_e32 v0, vcc, s4, v4
	v_addc_co_u32_e32 v1, vcc, v5, v19, vcc
	global_store_dwordx2 v[0:1], v[7:8], off
	s_and_b64 exec, exec, s[0:1]
	s_cbranch_execz .LBB0_23
; %bb.22:
	global_load_dwordx2 v[4:5], v[142:143], off offset:440
	ds_read2_b64 v[7:10], v171 offset0:55 offset1:160
	s_waitcnt vmcnt(0) lgkmcnt(0)
	v_mul_f32_e32 v11, v8, v5
	v_mul_f32_e32 v5, v7, v5
	v_fmac_f32_e32 v11, v7, v4
	v_fma_f32 v7, v4, v8, -v5
	v_cvt_f64_f32_e32 v[4:5], v11
	v_cvt_f64_f32_e32 v[7:8], v7
	v_mov_b32_e32 v11, 0xffffe0e8
	v_mad_u64_u32 v[0:1], s[0:1], s12, v11, v[0:1]
	v_mul_f64 v[4:5], v[4:5], s[2:3]
	v_mul_f64 v[7:8], v[7:8], s[2:3]
	s_mul_i32 s0, s13, 0xffffe0e8
	s_sub_i32 s0, s0, s12
	v_add_u32_e32 v1, s0, v1
	v_mov_b32_e32 v11, s5
	v_cvt_f32_f64_e32 v4, v[4:5]
	v_cvt_f32_f64_e32 v5, v[7:8]
	global_store_dwordx2 v[0:1], v[4:5], off
	global_load_dwordx2 v[4:5], v[142:143], off offset:1280
	v_add_co_u32_e32 v0, vcc, s4, v0
	v_addc_co_u32_e32 v1, vcc, v1, v11, vcc
	s_waitcnt vmcnt(0)
	v_mul_f32_e32 v7, v10, v5
	v_mul_f32_e32 v5, v9, v5
	v_fmac_f32_e32 v7, v9, v4
	v_fma_f32 v8, v4, v10, -v5
	v_cvt_f64_f32_e32 v[4:5], v7
	v_cvt_f64_f32_e32 v[7:8], v8
	v_mul_f64 v[4:5], v[4:5], s[2:3]
	v_mul_f64 v[7:8], v[7:8], s[2:3]
	v_cvt_f32_f64_e32 v4, v[4:5]
	v_cvt_f32_f64_e32 v5, v[7:8]
	ds_read2_b64 v[7:10], v3 offset0:9 offset1:114
	global_store_dwordx2 v[0:1], v[4:5], off
	global_load_dwordx2 v[4:5], v[142:143], off offset:2120
	v_add_co_u32_e32 v0, vcc, s4, v0
	v_addc_co_u32_e32 v1, vcc, v1, v11, vcc
	s_waitcnt vmcnt(0) lgkmcnt(0)
	v_mul_f32_e32 v3, v8, v5
	v_mul_f32_e32 v5, v7, v5
	v_fmac_f32_e32 v3, v7, v4
	v_fma_f32 v5, v4, v8, -v5
	v_cvt_f64_f32_e32 v[3:4], v3
	v_cvt_f64_f32_e32 v[7:8], v5
	v_mul_f64 v[3:4], v[3:4], s[2:3]
	v_mul_f64 v[7:8], v[7:8], s[2:3]
	v_cvt_f32_f64_e32 v3, v[3:4]
	v_cvt_f32_f64_e32 v4, v[7:8]
	global_store_dwordx2 v[0:1], v[3:4], off
	global_load_dwordx2 v[3:4], v[142:143], off offset:2960
	v_add_co_u32_e32 v0, vcc, s4, v0
	v_addc_co_u32_e32 v1, vcc, v1, v11, vcc
	s_waitcnt vmcnt(0)
	v_mul_f32_e32 v5, v10, v4
	v_mul_f32_e32 v4, v9, v4
	v_fmac_f32_e32 v5, v9, v3
	v_fma_f32 v7, v3, v10, -v4
	v_cvt_f64_f32_e32 v[3:4], v5
	v_cvt_f64_f32_e32 v[7:8], v7
	v_mul_f64 v[3:4], v[3:4], s[2:3]
	v_mul_f64 v[7:8], v[7:8], s[2:3]
	v_cvt_f32_f64_e32 v3, v[3:4]
	v_cvt_f32_f64_e32 v4, v[7:8]
	global_store_dwordx2 v[0:1], v[3:4], off
	global_load_dwordx2 v[7:8], v[142:143], off offset:3800
	ds_read2_b64 v[3:6], v6 offset0:91 offset1:196
	s_waitcnt vmcnt(0) lgkmcnt(0)
	v_mul_f32_e32 v9, v4, v8
	v_mul_f32_e32 v8, v3, v8
	v_fmac_f32_e32 v9, v3, v7
	v_fma_f32 v7, v7, v4, -v8
	v_cvt_f64_f32_e32 v[3:4], v9
	v_cvt_f64_f32_e32 v[7:8], v7
	v_add_co_u32_e32 v9, vcc, s7, v142
	v_mul_f64 v[3:4], v[3:4], s[2:3]
	v_mul_f64 v[7:8], v[7:8], s[2:3]
	v_addc_co_u32_e32 v10, vcc, 0, v143, vcc
	v_add_co_u32_e32 v0, vcc, s4, v0
	v_addc_co_u32_e32 v1, vcc, v1, v11, vcc
	v_cvt_f32_f64_e32 v3, v[3:4]
	v_cvt_f32_f64_e32 v4, v[7:8]
	global_store_dwordx2 v[0:1], v[3:4], off
	global_load_dwordx2 v[3:4], v[9:10], off offset:544
	v_add_co_u32_e32 v0, vcc, s4, v0
	v_addc_co_u32_e32 v1, vcc, v1, v11, vcc
	s_waitcnt vmcnt(0)
	v_mul_f32_e32 v7, v6, v4
	v_mul_f32_e32 v4, v5, v4
	v_fmac_f32_e32 v7, v5, v3
	v_fma_f32 v5, v3, v6, -v4
	v_cvt_f64_f32_e32 v[3:4], v7
	v_cvt_f64_f32_e32 v[5:6], v5
	v_mul_f64 v[3:4], v[3:4], s[2:3]
	v_mul_f64 v[5:6], v[5:6], s[2:3]
	v_cvt_f32_f64_e32 v3, v[3:4]
	v_cvt_f32_f64_e32 v4, v[5:6]
	global_store_dwordx2 v[0:1], v[3:4], off
	global_load_dwordx2 v[7:8], v[9:10], off offset:1384
	v_add_u32_e32 v3, 0x1400, v171
	ds_read2_b64 v[3:6], v3 offset0:45 offset1:150
	v_add_co_u32_e32 v0, vcc, s4, v0
	v_addc_co_u32_e32 v1, vcc, v1, v11, vcc
	s_waitcnt vmcnt(0) lgkmcnt(0)
	v_mul_f32_e32 v12, v4, v8
	v_mul_f32_e32 v8, v3, v8
	v_fmac_f32_e32 v12, v3, v7
	v_fma_f32 v7, v7, v4, -v8
	v_cvt_f64_f32_e32 v[3:4], v12
	v_cvt_f64_f32_e32 v[7:8], v7
	v_mul_f64 v[3:4], v[3:4], s[2:3]
	v_mul_f64 v[7:8], v[7:8], s[2:3]
	v_cvt_f32_f64_e32 v3, v[3:4]
	v_cvt_f32_f64_e32 v4, v[7:8]
	global_store_dwordx2 v[0:1], v[3:4], off
	global_load_dwordx2 v[3:4], v[9:10], off offset:2224
	s_waitcnt vmcnt(0)
	v_mul_f32_e32 v7, v6, v4
	v_mul_f32_e32 v4, v5, v4
	v_fmac_f32_e32 v7, v5, v3
	v_fma_f32 v5, v3, v6, -v4
	v_cvt_f64_f32_e32 v[3:4], v7
	v_cvt_f64_f32_e32 v[5:6], v5
	v_mul_f64 v[3:4], v[3:4], s[2:3]
	v_mul_f64 v[5:6], v[5:6], s[2:3]
	v_cvt_f32_f64_e32 v3, v[3:4]
	v_cvt_f32_f64_e32 v4, v[5:6]
	v_add_co_u32_e32 v5, vcc, s4, v0
	v_addc_co_u32_e32 v6, vcc, v1, v11, vcc
	global_store_dwordx2 v[5:6], v[3:4], off
	global_load_dwordx2 v[7:8], v[9:10], off offset:3064
	ds_read2_b64 v[0:3], v2 offset0:127 offset1:232
	s_waitcnt vmcnt(0) lgkmcnt(0)
	v_mul_f32_e32 v4, v1, v8
	v_mul_f32_e32 v8, v0, v8
	v_fmac_f32_e32 v4, v0, v7
	v_fma_f32 v7, v7, v1, -v8
	v_cvt_f64_f32_e32 v[0:1], v4
	v_cvt_f64_f32_e32 v[7:8], v7
	v_add_co_u32_e32 v4, vcc, s4, v5
	v_mul_f64 v[0:1], v[0:1], s[2:3]
	v_mul_f64 v[7:8], v[7:8], s[2:3]
	v_addc_co_u32_e32 v5, vcc, v6, v11, vcc
	v_cvt_f32_f64_e32 v0, v[0:1]
	v_cvt_f32_f64_e32 v1, v[7:8]
	global_store_dwordx2 v[4:5], v[0:1], off
	global_load_dwordx2 v[0:1], v[9:10], off offset:3904
	s_waitcnt vmcnt(0)
	v_mul_f32_e32 v6, v3, v1
	v_mul_f32_e32 v1, v2, v1
	v_fmac_f32_e32 v6, v2, v0
	v_fma_f32 v2, v0, v3, -v1
	v_cvt_f64_f32_e32 v[0:1], v6
	v_cvt_f64_f32_e32 v[2:3], v2
	v_add_co_u32_e32 v6, vcc, s6, v142
	v_mul_f64 v[0:1], v[0:1], s[2:3]
	v_mul_f64 v[2:3], v[2:3], s[2:3]
	v_addc_co_u32_e32 v7, vcc, 0, v143, vcc
	v_cvt_f32_f64_e32 v0, v[0:1]
	v_cvt_f32_f64_e32 v1, v[2:3]
	v_add_co_u32_e32 v2, vcc, s4, v4
	v_addc_co_u32_e32 v3, vcc, v5, v11, vcc
	global_store_dwordx2 v[2:3], v[0:1], off
	global_load_dwordx2 v[0:1], v[6:7], off offset:648
	ds_read_b64 v[4:5], v171 offset:8840
	v_add_co_u32_e32 v2, vcc, s4, v2
	v_addc_co_u32_e32 v3, vcc, v3, v11, vcc
	s_waitcnt vmcnt(0) lgkmcnt(0)
	v_mul_f32_e32 v6, v5, v1
	v_mul_f32_e32 v1, v4, v1
	v_fmac_f32_e32 v6, v4, v0
	v_fma_f32 v4, v0, v5, -v1
	v_cvt_f64_f32_e32 v[0:1], v6
	v_cvt_f64_f32_e32 v[4:5], v4
	v_mul_f64 v[0:1], v[0:1], s[2:3]
	v_mul_f64 v[4:5], v[4:5], s[2:3]
	v_cvt_f32_f64_e32 v0, v[0:1]
	v_cvt_f32_f64_e32 v1, v[4:5]
	global_store_dwordx2 v[2:3], v[0:1], off
.LBB0_23:
	s_endpgm
	.section	.rodata,"a",@progbits
	.p2align	6, 0x0
	.amdhsa_kernel bluestein_single_back_len1155_dim1_sp_op_CI_CI
		.amdhsa_group_segment_fixed_size 9240
		.amdhsa_private_segment_fixed_size 0
		.amdhsa_kernarg_size 104
		.amdhsa_user_sgpr_count 6
		.amdhsa_user_sgpr_private_segment_buffer 1
		.amdhsa_user_sgpr_dispatch_ptr 0
		.amdhsa_user_sgpr_queue_ptr 0
		.amdhsa_user_sgpr_kernarg_segment_ptr 1
		.amdhsa_user_sgpr_dispatch_id 0
		.amdhsa_user_sgpr_flat_scratch_init 0
		.amdhsa_user_sgpr_private_segment_size 0
		.amdhsa_uses_dynamic_stack 0
		.amdhsa_system_sgpr_private_segment_wavefront_offset 0
		.amdhsa_system_sgpr_workgroup_id_x 1
		.amdhsa_system_sgpr_workgroup_id_y 0
		.amdhsa_system_sgpr_workgroup_id_z 0
		.amdhsa_system_sgpr_workgroup_info 0
		.amdhsa_system_vgpr_workitem_id 0
		.amdhsa_next_free_vgpr 243
		.amdhsa_next_free_sgpr 22
		.amdhsa_reserve_vcc 1
		.amdhsa_reserve_flat_scratch 0
		.amdhsa_float_round_mode_32 0
		.amdhsa_float_round_mode_16_64 0
		.amdhsa_float_denorm_mode_32 3
		.amdhsa_float_denorm_mode_16_64 3
		.amdhsa_dx10_clamp 1
		.amdhsa_ieee_mode 1
		.amdhsa_fp16_overflow 0
		.amdhsa_exception_fp_ieee_invalid_op 0
		.amdhsa_exception_fp_denorm_src 0
		.amdhsa_exception_fp_ieee_div_zero 0
		.amdhsa_exception_fp_ieee_overflow 0
		.amdhsa_exception_fp_ieee_underflow 0
		.amdhsa_exception_fp_ieee_inexact 0
		.amdhsa_exception_int_div_zero 0
	.end_amdhsa_kernel
	.text
.Lfunc_end0:
	.size	bluestein_single_back_len1155_dim1_sp_op_CI_CI, .Lfunc_end0-bluestein_single_back_len1155_dim1_sp_op_CI_CI
                                        ; -- End function
	.section	.AMDGPU.csdata,"",@progbits
; Kernel info:
; codeLenInByte = 24952
; NumSgprs: 26
; NumVgprs: 243
; ScratchSize: 0
; MemoryBound: 0
; FloatMode: 240
; IeeeMode: 1
; LDSByteSize: 9240 bytes/workgroup (compile time only)
; SGPRBlocks: 3
; VGPRBlocks: 60
; NumSGPRsForWavesPerEU: 26
; NumVGPRsForWavesPerEU: 243
; Occupancy: 1
; WaveLimiterHint : 1
; COMPUTE_PGM_RSRC2:SCRATCH_EN: 0
; COMPUTE_PGM_RSRC2:USER_SGPR: 6
; COMPUTE_PGM_RSRC2:TRAP_HANDLER: 0
; COMPUTE_PGM_RSRC2:TGID_X_EN: 1
; COMPUTE_PGM_RSRC2:TGID_Y_EN: 0
; COMPUTE_PGM_RSRC2:TGID_Z_EN: 0
; COMPUTE_PGM_RSRC2:TIDIG_COMP_CNT: 0
	.type	__hip_cuid_ef9e7ecc6d097d42,@object ; @__hip_cuid_ef9e7ecc6d097d42
	.section	.bss,"aw",@nobits
	.globl	__hip_cuid_ef9e7ecc6d097d42
__hip_cuid_ef9e7ecc6d097d42:
	.byte	0                               ; 0x0
	.size	__hip_cuid_ef9e7ecc6d097d42, 1

	.ident	"AMD clang version 19.0.0git (https://github.com/RadeonOpenCompute/llvm-project roc-6.4.0 25133 c7fe45cf4b819c5991fe208aaa96edf142730f1d)"
	.section	".note.GNU-stack","",@progbits
	.addrsig
	.addrsig_sym __hip_cuid_ef9e7ecc6d097d42
	.amdgpu_metadata
---
amdhsa.kernels:
  - .args:
      - .actual_access:  read_only
        .address_space:  global
        .offset:         0
        .size:           8
        .value_kind:     global_buffer
      - .actual_access:  read_only
        .address_space:  global
        .offset:         8
        .size:           8
        .value_kind:     global_buffer
      - .actual_access:  read_only
        .address_space:  global
        .offset:         16
        .size:           8
        .value_kind:     global_buffer
      - .actual_access:  read_only
        .address_space:  global
        .offset:         24
        .size:           8
        .value_kind:     global_buffer
      - .actual_access:  read_only
        .address_space:  global
        .offset:         32
        .size:           8
        .value_kind:     global_buffer
      - .offset:         40
        .size:           8
        .value_kind:     by_value
      - .address_space:  global
        .offset:         48
        .size:           8
        .value_kind:     global_buffer
      - .address_space:  global
        .offset:         56
        .size:           8
        .value_kind:     global_buffer
      - .address_space:  global
        .offset:         64
        .size:           8
        .value_kind:     global_buffer
      - .address_space:  global
        .offset:         72
        .size:           8
        .value_kind:     global_buffer
      - .offset:         80
        .size:           4
        .value_kind:     by_value
      - .address_space:  global
        .offset:         88
        .size:           8
        .value_kind:     global_buffer
      - .address_space:  global
        .offset:         96
        .size:           8
        .value_kind:     global_buffer
    .group_segment_fixed_size: 9240
    .kernarg_segment_align: 8
    .kernarg_segment_size: 104
    .language:       OpenCL C
    .language_version:
      - 2
      - 0
    .max_flat_workgroup_size: 55
    .name:           bluestein_single_back_len1155_dim1_sp_op_CI_CI
    .private_segment_fixed_size: 0
    .sgpr_count:     26
    .sgpr_spill_count: 0
    .symbol:         bluestein_single_back_len1155_dim1_sp_op_CI_CI.kd
    .uniform_work_group_size: 1
    .uses_dynamic_stack: false
    .vgpr_count:     243
    .vgpr_spill_count: 0
    .wavefront_size: 64
amdhsa.target:   amdgcn-amd-amdhsa--gfx906
amdhsa.version:
  - 1
  - 2
...

	.end_amdgpu_metadata
